;; amdgpu-corpus repo=ROCm/rocFFT kind=compiled arch=gfx1201 opt=O3
	.text
	.amdgcn_target "amdgcn-amd-amdhsa--gfx1201"
	.amdhsa_code_object_version 6
	.protected	bluestein_single_fwd_len585_dim1_half_op_CI_CI ; -- Begin function bluestein_single_fwd_len585_dim1_half_op_CI_CI
	.globl	bluestein_single_fwd_len585_dim1_half_op_CI_CI
	.p2align	8
	.type	bluestein_single_fwd_len585_dim1_half_op_CI_CI,@function
bluestein_single_fwd_len585_dim1_half_op_CI_CI: ; @bluestein_single_fwd_len585_dim1_half_op_CI_CI
; %bb.0:
	s_load_b128 s[8:11], s[0:1], 0x28
	v_mul_u32_u24_e32 v1, 0x3f1, v0
	s_mov_b32 s2, exec_lo
	s_delay_alu instid0(VALU_DEP_1) | instskip(NEXT) | instid1(VALU_DEP_1)
	v_lshrrev_b32_e32 v1, 16, v1
	v_mad_co_u64_u32 v[16:17], null, ttmp9, 3, v[1:2]
	v_mov_b32_e32 v17, 0
	s_wait_kmcnt 0x0
	s_delay_alu instid0(VALU_DEP_1)
	v_cmpx_gt_u64_e64 s[8:9], v[16:17]
	s_cbranch_execz .LBB0_23
; %bb.1:
	v_mul_hi_u32 v2, 0xaaaaaaab, v16
	s_clause 0x1
	s_load_b64 s[20:21], s[0:1], 0x0
	s_load_b64 s[8:9], s[0:1], 0x38
	v_mul_lo_u16 v1, 0x41, v1
	s_delay_alu instid0(VALU_DEP_1) | instskip(NEXT) | instid1(VALU_DEP_3)
	v_sub_nc_u16 v0, v0, v1
	v_lshrrev_b32_e32 v2, 1, v2
	s_delay_alu instid0(VALU_DEP_2) | instskip(NEXT) | instid1(VALU_DEP_2)
	v_and_b32_e32 v34, 0xffff, v0
	v_lshl_add_u32 v2, v2, 1, v2
	v_cmp_gt_u16_e32 vcc_lo, 45, v0
	s_delay_alu instid0(VALU_DEP_3) | instskip(NEXT) | instid1(VALU_DEP_3)
	v_lshlrev_b32_e32 v33, 2, v34
	v_sub_nc_u32_e32 v1, v16, v2
	s_delay_alu instid0(VALU_DEP_1) | instskip(NEXT) | instid1(VALU_DEP_1)
	v_mul_u32_u24_e32 v15, 0x249, v1
	v_lshlrev_b32_e32 v35, 2, v15
	s_and_saveexec_b32 s3, vcc_lo
	s_cbranch_execz .LBB0_3
; %bb.2:
	s_load_b64 s[4:5], s[0:1], 0x18
	s_wait_kmcnt 0x0
	s_load_b128 s[4:7], s[4:5], 0x0
	s_wait_kmcnt 0x0
	v_mad_co_u64_u32 v[0:1], null, s6, v16, 0
	v_mad_co_u64_u32 v[2:3], null, s4, v34, 0
	s_delay_alu instid0(VALU_DEP_1) | instskip(NEXT) | instid1(VALU_DEP_1)
	v_mad_co_u64_u32 v[4:5], null, s7, v16, v[1:2]
	v_mad_co_u64_u32 v[5:6], null, s5, v34, v[3:4]
	v_mov_b32_e32 v1, v4
	s_mul_u64 s[4:5], s[4:5], 0xb4
	s_delay_alu instid0(VALU_DEP_1) | instskip(NEXT) | instid1(VALU_DEP_3)
	v_lshlrev_b64_e32 v[0:1], 2, v[0:1]
	v_mov_b32_e32 v3, v5
	s_clause 0x7
	global_load_b32 v4, v33, s[20:21]
	global_load_b32 v5, v33, s[20:21] offset:180
	global_load_b32 v6, v33, s[20:21] offset:360
	;; [unrolled: 1-line block ×7, first 2 shown]
	v_add_co_u32 v0, s2, s10, v0
	v_lshlrev_b64_e32 v[2:3], 2, v[2:3]
	v_add_co_ci_u32_e64 v1, s2, s11, v1, s2
	s_delay_alu instid0(VALU_DEP_2) | instskip(SKIP_1) | instid1(VALU_DEP_2)
	v_add_co_u32 v0, s2, v0, v2
	s_wait_alu 0xf1ff
	v_add_co_ci_u32_e64 v1, s2, v1, v3, s2
	global_load_b32 v12, v[0:1], off
	s_wait_alu 0xfffe
	v_add_co_u32 v0, s2, v0, s4
	s_wait_alu 0xf1ff
	v_add_co_ci_u32_e64 v1, s2, s5, v1, s2
	s_clause 0x4
	global_load_b32 v13, v33, s[20:21] offset:1440
	global_load_b32 v14, v33, s[20:21] offset:1620
	;; [unrolled: 1-line block ×5, first 2 shown]
	v_add_co_u32 v2, s2, v0, s4
	s_wait_alu 0xf1ff
	v_add_co_ci_u32_e64 v3, s2, s5, v1, s2
	global_load_b32 v20, v[0:1], off
	v_add_co_u32 v0, s2, v2, s4
	s_wait_alu 0xf1ff
	v_add_co_ci_u32_e64 v1, s2, s5, v3, s2
	s_clause 0x1
	global_load_b32 v21, v[2:3], off
	global_load_b32 v22, v[0:1], off
	v_add_co_u32 v0, s2, v0, s4
	s_wait_alu 0xf1ff
	v_add_co_ci_u32_e64 v1, s2, s5, v1, s2
	s_delay_alu instid0(VALU_DEP_2) | instskip(SKIP_1) | instid1(VALU_DEP_2)
	v_add_co_u32 v2, s2, v0, s4
	s_wait_alu 0xf1ff
	v_add_co_ci_u32_e64 v3, s2, s5, v1, s2
	global_load_b32 v23, v[0:1], off
	v_add_co_u32 v0, s2, v2, s4
	s_wait_alu 0xf1ff
	v_add_co_ci_u32_e64 v1, s2, s5, v3, s2
	global_load_b32 v24, v[2:3], off
	global_load_b32 v25, v[0:1], off
	v_add_co_u32 v0, s2, v0, s4
	s_wait_alu 0xf1ff
	v_add_co_ci_u32_e64 v1, s2, s5, v1, s2
	s_delay_alu instid0(VALU_DEP_2) | instskip(SKIP_1) | instid1(VALU_DEP_2)
	v_add_co_u32 v2, s2, v0, s4
	s_wait_alu 0xf1ff
	v_add_co_ci_u32_e64 v3, s2, s5, v1, s2
	global_load_b32 v26, v[0:1], off
	v_add_co_u32 v0, s2, v2, s4
	s_wait_alu 0xf1ff
	v_add_co_ci_u32_e64 v1, s2, s5, v3, s2
	global_load_b32 v27, v[2:3], off
	v_add_co_u32 v2, s2, v0, s4
	s_wait_alu 0xf1ff
	v_add_co_ci_u32_e64 v3, s2, s5, v1, s2
	global_load_b32 v28, v[0:1], off
	v_add_co_u32 v0, s2, v2, s4
	s_wait_alu 0xf1ff
	v_add_co_ci_u32_e64 v1, s2, s5, v3, s2
	global_load_b32 v29, v[2:3], off
	v_add_co_u32 v2, s2, v0, s4
	s_wait_alu 0xf1ff
	v_add_co_ci_u32_e64 v3, s2, s5, v1, s2
	global_load_b32 v0, v[0:1], off
	global_load_b32 v1, v[2:3], off
	v_lshl_add_u32 v3, v34, 2, v35
	v_add_nc_u32_e32 v2, v35, v33
	s_delay_alu instid0(VALU_DEP_1)
	v_add_nc_u32_e32 v30, 0x200, v2
	v_add_nc_u32_e32 v31, 0x400, v2
	s_wait_loadcnt 0x19
	v_lshrrev_b32_e32 v32, 16, v4
	s_wait_loadcnt 0x18
	v_lshrrev_b32_e32 v36, 16, v5
	;; [unrolled: 2-line block ×9, first 2 shown]
	v_mul_f16_e32 v47, v32, v12
	s_wait_loadcnt 0x10
	v_lshrrev_b32_e32 v43, 16, v13
	s_wait_loadcnt 0xf
	v_lshrrev_b32_e32 v45, 16, v14
	;; [unrolled: 2-line block ×3, first 2 shown]
	v_mul_f16_e32 v32, v32, v44
	v_fma_f16 v44, v4, v44, -v47
	s_wait_loadcnt 0xd
	v_lshrrev_b32_e32 v48, 16, v18
	s_wait_loadcnt 0xc
	v_lshrrev_b32_e32 v50, 16, v19
	;; [unrolled: 2-line block ×3, first 2 shown]
	v_mul_f16_e32 v47, v36, v20
	v_fmac_f16_e32 v32, v4, v12
	s_delay_alu instid0(VALU_DEP_3)
	v_mul_f16_e32 v4, v36, v49
	s_wait_loadcnt 0xa
	v_lshrrev_b32_e32 v12, 16, v21
	v_mul_f16_e32 v36, v37, v21
	v_fma_f16 v47, v5, v49, -v47
	v_pack_b32_f16 v32, v32, v44
	v_fmac_f16_e32 v4, v5, v20
	v_mul_f16_e32 v5, v37, v12
	s_wait_loadcnt 0x9
	v_lshrrev_b32_e32 v20, 16, v22
	v_fma_f16 v12, v6, v12, -v36
	v_mul_f16_e32 v36, v38, v22
	ds_store_b32 v3, v32
	v_pack_b32_f16 v3, v4, v47
	v_fmac_f16_e32 v5, v6, v21
	v_mul_f16_e32 v4, v38, v20
	s_wait_loadcnt 0x8
	v_lshrrev_b32_e32 v6, 16, v23
	v_mul_f16_e32 v21, v39, v23
	v_fma_f16 v20, v7, v20, -v36
	v_pack_b32_f16 v5, v5, v12
	v_fmac_f16_e32 v4, v7, v22
	v_mul_f16_e32 v7, v39, v6
	s_wait_loadcnt 0x7
	v_lshrrev_b32_e32 v12, 16, v24
	v_fma_f16 v6, v8, v6, -v21
	v_mul_f16_e32 v21, v40, v24
	ds_store_2addr_b32 v2, v3, v5 offset0:45 offset1:90
	v_pack_b32_f16 v3, v4, v20
	v_fmac_f16_e32 v7, v8, v23
	v_mul_f16_e32 v4, v40, v12
	s_wait_loadcnt 0x6
	v_lshrrev_b32_e32 v5, 16, v25
	v_fma_f16 v8, v9, v12, -v21
	v_mul_f16_e32 v12, v41, v25
	v_pack_b32_f16 v6, v7, v6
	v_fmac_f16_e32 v4, v9, v24
	v_mul_f16_e32 v7, v41, v5
	s_wait_loadcnt 0x5
	v_lshrrev_b32_e32 v9, 16, v26
	v_mul_f16_e32 v20, v42, v26
	v_fma_f16 v5, v10, v5, -v12
	v_pack_b32_f16 v4, v4, v8
	v_fmac_f16_e32 v7, v10, v25
	v_mul_f16_e32 v8, v42, v9
	s_wait_loadcnt 0x4
	v_lshrrev_b32_e32 v10, 16, v27
	v_fma_f16 v9, v11, v9, -v20
	v_mul_f16_e32 v12, v43, v27
	v_pack_b32_f16 v5, v7, v5
	v_fmac_f16_e32 v8, v11, v26
	s_wait_loadcnt 0x3
	v_lshrrev_b32_e32 v7, 16, v28
	v_mul_f16_e32 v11, v43, v10
	v_fma_f16 v10, v13, v10, -v12
	v_mul_f16_e32 v12, v45, v28
	v_pack_b32_f16 v8, v8, v9
	v_mul_f16_e32 v9, v45, v7
	v_fmac_f16_e32 v11, v13, v27
	s_wait_loadcnt 0x2
	v_lshrrev_b32_e32 v13, 16, v29
	v_fma_f16 v7, v14, v7, -v12
	v_mul_f16_e32 v12, v46, v29
	v_fmac_f16_e32 v9, v14, v28
	s_wait_loadcnt 0x1
	v_lshrrev_b32_e32 v14, 16, v0
	s_wait_loadcnt 0x0
	v_lshrrev_b32_e32 v21, 16, v1
	v_mul_f16_e32 v20, v46, v13
	v_fma_f16 v12, v17, v13, -v12
	v_mul_f16_e32 v13, v48, v0
	v_mul_f16_e32 v22, v48, v14
	;; [unrolled: 1-line block ×4, first 2 shown]
	v_fmac_f16_e32 v20, v17, v29
	v_fma_f16 v13, v18, v14, -v13
	v_fmac_f16_e32 v22, v18, v0
	v_fma_f16 v0, v19, v21, -v23
	v_fmac_f16_e32 v24, v19, v1
	v_pack_b32_f16 v1, v11, v10
	v_pack_b32_f16 v7, v9, v7
	;; [unrolled: 1-line block ×5, first 2 shown]
	v_add_nc_u32_e32 v11, 0x600, v2
	ds_store_2addr_b32 v2, v3, v6 offset0:135 offset1:180
	ds_store_2addr_b32 v30, v4, v5 offset0:97 offset1:142
	;; [unrolled: 1-line block ×5, first 2 shown]
.LBB0_3:
	s_or_b32 exec_lo, exec_lo, s3
	v_mov_b32_e32 v6, 0
	global_wb scope:SCOPE_SE
	s_wait_dscnt 0x0
	s_wait_kmcnt 0x0
	s_barrier_signal -1
	s_barrier_wait -1
	global_inv scope:SCOPE_SE
                                        ; implicit-def: $vgpr5
                                        ; implicit-def: $vgpr2
                                        ; implicit-def: $vgpr9
                                        ; implicit-def: $vgpr0
                                        ; implicit-def: $vgpr12
                                        ; implicit-def: $vgpr19
	s_and_saveexec_b32 s2, vcc_lo
	s_cbranch_execz .LBB0_5
; %bb.4:
	v_lshl_add_u32 v10, v15, 2, v33
	s_delay_alu instid0(VALU_DEP_1)
	v_add_nc_u32_e32 v0, 0x400, v10
	ds_load_2addr_b32 v[6:7], v10 offset1:45
	ds_load_2addr_b32 v[11:12], v10 offset0:90 offset1:135
	ds_load_2addr_b32 v[8:9], v10 offset0:180 offset1:225
	ds_load_2addr_b32 v[4:5], v0 offset0:14 offset1:59
	ds_load_2addr_b32 v[2:3], v0 offset0:104 offset1:149
	ds_load_2addr_b32 v[0:1], v0 offset0:194 offset1:239
	ds_load_b32 v19, v10 offset:2160
.LBB0_5:
	s_wait_alu 0xfffe
	s_or_b32 exec_lo, exec_lo, s2
	s_wait_dscnt 0x0
	v_pk_add_f16 v10, v7, v19 neg_lo:[0,1] neg_hi:[0,1]
	v_pk_add_f16 v31, v11, v1 neg_lo:[0,1] neg_hi:[0,1]
	v_pk_add_f16 v56, v19, v7
	v_pk_add_f16 v75, v12, v0 neg_lo:[0,1] neg_hi:[0,1]
	v_pk_add_f16 v59, v1, v11
	v_lshrrev_b32_e32 v13, 16, v10
	v_lshrrev_b32_e32 v28, 16, v31
	;; [unrolled: 1-line block ×4, first 2 shown]
	v_mul_f16_e32 v21, 0xb770, v10
	v_mul_f16_e32 v22, 0xb770, v13
	;; [unrolled: 1-line block ×9, first 2 shown]
	v_fmamk_f16 v17, v56, 0x3b15, v22
	v_fma_f16 v40, v56, 0xb9fd, -v13
	v_fmac_f16_e32 v13, 0xb9fd, v56
	v_mul_f16_e32 v54, 0xbb7b, v10
	v_mul_f16_e32 v25, 0xb94e, v10
	;; [unrolled: 1-line block ×3, first 2 shown]
	v_lshrrev_b32_e32 v60, 16, v59
	v_mul_f16_e32 v26, 0xbb7b, v28
	v_mul_f16_e32 v47, 0xb3a8, v28
	v_mul_f16_e32 v52, 0x394e, v28
	v_mul_f16_e32 v28, 0x3bf1, v31
	v_fma_f16 v78, v59, 0x2fb7, -v66
	v_fmac_f16_e32 v66, 0x2fb7, v59
	v_pk_add_f16 v62, v0, v12
	v_pk_add_f16 v85, v8, v3 neg_lo:[0,1] neg_hi:[0,1]
	v_mul_f16_e32 v67, 0xba95, v79
	v_add_f16_e32 v13, v13, v6
	v_pk_mul_f16 v10, 0xb3a8, v10 op_sel_hi:[0,1]
	v_fmamk_f16 v18, v56, 0x388b, v27
	v_fmamk_f16 v41, v57, 0xb9fd, v25
	v_fma_f16 v43, v57, 0xb9fd, -v25
	v_mul_f16_e32 v25, 0xba95, v31
	v_fmamk_f16 v53, v59, 0x388b, v24
	v_mul_f16_e32 v42, 0xbb7b, v31
	v_mul_f16_e32 v48, 0xb3a8, v31
	;; [unrolled: 1-line block ×3, first 2 shown]
	v_fmamk_f16 v80, v60, 0x2fb7, v28
	v_fma_f16 v82, v60, 0x2fb7, -v28
	v_mul_f16_e32 v28, 0xbbf1, v79
	v_lshrrev_b32_e32 v83, 16, v85
	v_fma_f16 v86, v62, 0x388b, -v67
	v_pk_add_f16 v90, v9, v2 neg_lo:[0,1] neg_hi:[0,1]
	v_fmac_f16_e32 v67, 0x388b, v62
	v_add_f16_e32 v17, v17, v6
	v_add_f16_e32 v13, v66, v13
	v_pk_mul_f16 v31, 0x3770, v31 op_sel_hi:[0,1]
	v_pk_fma_f16 v66, 0xbbc4, v56, v10 op_sel:[0,0,1] op_sel_hi:[0,1,0]
	v_fmamk_f16 v55, v59, 0xb5ac, v26
	v_mul_f16_e32 v37, 0xb3a8, v79
	v_fmamk_f16 v70, v62, 0x2fb7, v28
	v_pk_add_f16 v61, v3, v8
	v_mul_f16_e32 v44, 0xbb7b, v83
	v_lshrrev_b32_e32 v88, 16, v90
	v_pk_add_f16 v94, v4, v5 neg_lo:[0,1] neg_hi:[0,1]
	v_add_f16_e32 v18, v18, v6
	v_add_f16_e32 v17, v53, v17
	;; [unrolled: 1-line block ×3, first 2 shown]
	v_pk_add_f16 v66, v66, v6
	v_pk_fma_f16 v67, 0x3b15, v59, v31 op_sel:[0,0,1] op_sel_hi:[0,1,0]
	v_pk_mul_f16 v96, 0xb94e, v75 op_sel_hi:[0,1]
	v_fmamk_f16 v72, v62, 0xbbc4, v37
	v_mul_f16_e32 v46, 0x394e, v83
	v_fmamk_f16 v81, v61, 0xb5ac, v44
	v_pk_add_f16 v63, v2, v9
	v_mul_f16_e32 v45, 0xb94e, v88
	v_lshrrev_b32_e32 v95, 16, v94
	v_add_f16_e32 v18, v55, v18
	v_add_f16_e32 v17, v70, v17
	v_pk_add_f16 v66, v67, v66
	v_pk_fma_f16 v67, 0xb9fd, v62, v96 op_sel:[0,0,1] op_sel_hi:[0,1,0]
	v_pk_mul_f16 v97, 0x3a95, v85 op_sel_hi:[0,1]
	v_mul_f16_e32 v74, 0x33a8, v83
	v_fmamk_f16 v84, v61, 0xb9fd, v46
	v_mul_f16_e32 v50, 0x3bf1, v88
	v_fmamk_f16 v89, v63, 0xb9fd, v45
	v_pk_add_f16 v65, v5, v4
	v_mul_f16_e32 v51, 0xb3a8, v95
	v_add_f16_e32 v18, v72, v18
	v_add_f16_e32 v17, v81, v17
	v_pk_add_f16 v66, v67, v66
	v_pk_fma_f16 v67, 0x388b, v61, v97 op_sel:[0,0,1] op_sel_hi:[0,1,0]
	v_pk_mul_f16 v99, 0xbb7b, v90 op_sel_hi:[0,1]
	v_fma_f16 v14, v57, 0x3b15, -v21
	v_fma_f16 v91, v61, 0xbbc4, -v74
	v_mul_f16_e32 v87, 0x3770, v88
	v_fmac_f16_e32 v74, 0xbbc4, v61
	v_fmamk_f16 v92, v63, 0x2fb7, v50
	v_fmamk_f16 v53, v65, 0xbbc4, v51
	v_mul_f16_e32 v55, 0x3770, v95
	v_add_f16_e32 v18, v84, v18
	v_add_f16_e32 v17, v89, v17
	v_pk_add_f16 v66, v67, v66
	v_pk_fma_f16 v81, 0xb5ac, v63, v99 op_sel:[0,0,1] op_sel_hi:[0,1,0]
	v_lshrrev_b32_e32 v67, 16, v6
	v_fma_f16 v30, v57, 0x2fb7, -v38
	v_fmamk_f16 v32, v56, 0xb5ac, v49
	v_fma_f16 v68, v60, 0x388b, -v25
	v_fma_f16 v93, v63, 0x3b15, -v87
	v_fmac_f16_e32 v87, 0x3b15, v63
	v_fmamk_f16 v70, v65, 0x3b15, v55
	v_mul_f16_e32 v72, 0xbb7b, v95
	v_add_f16_e32 v13, v74, v13
	v_add_f16_e32 v74, v92, v18
	v_pk_mul_f16 v100, 0x3bf1, v94 op_sel_hi:[0,1]
	v_add_f16_e32 v18, v53, v17
	v_pk_add_f16 v53, v81, v66
	v_add_f16_e32 v81, v14, v67
	v_fma_f16 v20, v57, 0x388b, -v29
	v_fmamk_f16 v23, v56, 0x2fb7, v36
	v_fma_f16 v39, v57, 0xb5ac, -v54
	v_fma_f16 v73, v60, 0xbbc4, -v48
	v_fmamk_f16 v76, v59, 0xb9fd, v52
	v_fma_f16 v98, v65, 0xb5ac, -v72
	v_fmac_f16_e32 v72, 0xb5ac, v65
	v_add_f16_e32 v13, v87, v13
	v_add_f16_e32 v17, v70, v74
	v_pk_fma_f16 v74, 0x2fb7, v65, v100 op_sel:[0,0,1] op_sel_hi:[0,1,0]
	v_add_f16_e32 v92, v68, v81
	v_add_f16_e32 v30, v30, v67
	;; [unrolled: 1-line block ×3, first 2 shown]
	v_mul_f16_e32 v81, 0x3770, v79
	v_pk_fma_f16 v10, 0xbbc4, v56, v10 op_sel:[0,0,1] op_sel_hi:[0,1,0] neg_lo:[0,0,1] neg_hi:[0,0,1]
	v_fma_f16 v69, v60, 0xb5ac, -v42
	v_fmamk_f16 v71, v59, 0xbbc4, v47
	v_fma_f16 v77, v60, 0xb9fd, -v58
	v_lshrrev_b32_e32 v64, 16, v62
	v_mul_f16_e32 v66, 0xbbf1, v75
	v_mul_f16_e32 v70, 0xb3a8, v75
	v_add_f16_e32 v14, v72, v13
	v_pk_add_f16 v13, v74, v53
	v_add_f16_e32 v20, v20, v67
	v_add_f16_e32 v23, v23, v6
	v_mul_f16_e32 v72, 0x3b7b, v79
	v_mul_f16_e32 v74, 0x3b7b, v75
	v_add_f16_e32 v30, v73, v30
	v_add_f16_e32 v39, v39, v67
	;; [unrolled: 1-line block ×4, first 2 shown]
	v_mul_f16_e32 v84, 0x3770, v75
	v_fmamk_f16 v73, v62, 0x3b15, v81
	v_mul_f16_e32 v75, 0xba95, v75
	v_pk_add_f16 v10, v10, v6
	v_pk_fma_f16 v31, 0x3b15, v59, v31 op_sel:[0,0,1] op_sel_hi:[0,1,0] neg_lo:[0,0,1] neg_hi:[0,0,1]
	v_fma_f16 v89, v64, 0xbbc4, -v70
	v_add_f16_e32 v20, v69, v20
	v_add_f16_e32 v23, v71, v23
	v_fmamk_f16 v69, v62, 0xb5ac, v72
	v_fma_f16 v71, v64, 0xb5ac, -v74
	v_add_f16_e32 v39, v77, v39
	v_add_f16_e32 v40, v78, v40
	;; [unrolled: 1-line block ×4, first 2 shown]
	v_fmamk_f16 v79, v64, 0x388b, v75
	v_lshrrev_b32_e32 v87, 16, v61
	v_pk_add_f16 v10, v31, v10
	v_fma_f16 v31, v64, 0x388b, -v75
	v_mul_f16_e32 v75, 0x394e, v85
	v_mul_f16_e32 v77, 0x3770, v83
	v_add_f16_e32 v32, v73, v32
	v_pk_fma_f16 v73, 0xb9fd, v62, v96 op_sel:[0,0,1] op_sel_hi:[0,1,0] neg_lo:[0,0,1] neg_hi:[0,0,1]
	v_fma_f16 v53, v64, 0x2fb7, -v66
	v_fma_f16 v76, v64, 0x3b15, -v84
	v_add_f16_e32 v41, v80, v41
	v_add_f16_e32 v43, v82, v43
	v_mul_f16_e32 v68, 0xbb7b, v85
	v_add_f16_e32 v20, v89, v20
	v_add_f16_e32 v23, v69, v23
	v_add_f16_e32 v30, v71, v30
	v_fma_f16 v69, v87, 0xb9fd, -v75
	v_mul_f16_e32 v78, 0x3770, v85
	v_fmamk_f16 v71, v61, 0x3b15, v77
	v_mul_f16_e32 v83, 0xbbf1, v83
	v_add_f16_e32 v40, v86, v40
	v_mul_f16_e32 v86, 0xbbf1, v85
	v_pk_add_f16 v10, v73, v10
	v_mul_f16_e32 v73, 0x33a8, v85
	v_add_f16_e32 v53, v53, v92
	v_fma_f16 v80, v87, 0xb5ac, -v68
	v_add_f16_e32 v39, v76, v39
	v_add_f16_e32 v41, v79, v41
	v_fma_f16 v76, v87, 0x3b15, -v78
	v_add_f16_e32 v31, v31, v43
	v_fmamk_f16 v43, v61, 0x2fb7, v83
	v_fma_f16 v79, v87, 0x2fb7, -v86
	v_lshrrev_b32_e32 v89, 16, v63
	v_add_f16_e32 v20, v69, v20
	v_mul_f16_e32 v69, 0xb94e, v90
	v_add_f16_e32 v23, v71, v23
	v_fmamk_f16 v71, v87, 0xbbc4, v73
	v_fma_f16 v82, v87, 0xbbc4, -v73
	v_mul_f16_e32 v73, 0x3bf1, v90
	v_add_f16_e32 v53, v80, v53
	v_add_f16_e32 v30, v76, v30
	v_fma_f16 v76, v89, 0xb9fd, -v69
	v_add_f16_e32 v32, v43, v32
	v_add_f16_e32 v39, v79, v39
	v_mul_f16_e32 v79, 0xba95, v88
	v_mul_f16_e32 v80, 0xba95, v90
	v_pk_fma_f16 v43, 0x388b, v61, v97 op_sel:[0,0,1] op_sel_hi:[0,1,0] neg_lo:[0,0,1] neg_hi:[0,0,1]
	v_add_f16_e32 v41, v71, v41
	v_fma_f16 v71, v89, 0x2fb7, -v73
	v_mul_f16_e32 v88, 0x33a8, v88
	v_add_f16_e32 v40, v91, v40
	v_add_f16_e32 v31, v82, v31
	v_fmamk_f16 v82, v63, 0x388b, v79
	v_pk_add_f16 v10, v43, v10
	v_fma_f16 v43, v89, 0x388b, -v80
	v_add_f16_e32 v53, v76, v53
	v_mul_f16_e32 v91, 0x33a8, v90
	v_mul_f16_e32 v76, 0x3770, v90
	v_add_f16_e32 v20, v71, v20
	v_fmamk_f16 v71, v63, 0xbbc4, v88
	v_add_f16_e32 v96, v82, v23
	v_fma_f16 v23, v89, 0xbbc4, -v91
	v_add_f16_e32 v30, v43, v30
	v_fmamk_f16 v43, v89, 0x3b15, v76
	v_fma_f16 v82, v89, 0x3b15, -v76
	v_add_f16_e32 v32, v71, v32
	v_lshrrev_b32_e32 v92, 16, v65
	v_mul_f16_e32 v71, 0xb3a8, v94
	v_mul_f16_e32 v76, 0x3770, v94
	v_add_f16_e32 v23, v23, v39
	v_add_f16_e32 v39, v93, v40
	v_pk_fma_f16 v40, 0xb5ac, v63, v99 op_sel:[0,0,1] op_sel_hi:[0,1,0] neg_lo:[0,0,1] neg_hi:[0,0,1]
	v_add_f16_e32 v97, v43, v41
	v_fma_f16 v41, v92, 0xbbc4, -v71
	v_add_f16_e32 v99, v82, v31
	v_mul_f16_e32 v82, 0xb94e, v94
	v_fma_f16 v31, v92, 0x3b15, -v76
	v_mul_f16_e32 v90, 0x3a95, v95
	s_clause 0x1
	s_load_b64 s[4:5], s[0:1], 0x20
	s_load_b64 s[2:3], s[0:1], 0x8
	v_pk_add_f16 v101, v40, v10
	v_add_f16_e32 v40, v41, v53
	v_fma_f16 v10, v92, 0xb9fd, -v82
	v_add_f16_e32 v41, v31, v20
	v_fmamk_f16 v20, v65, 0x388b, v90
	v_mul_f16_e32 v93, 0x3a95, v94
	v_mul_f16_e32 v31, 0xbb7b, v94
	;; [unrolled: 1-line block ×3, first 2 shown]
	v_add_f16_e32 v43, v10, v30
	v_add_f16_e32 v30, v20, v32
	v_fma_f16 v10, v92, 0x388b, -v93
	v_fmamk_f16 v20, v92, 0xb5ac, v31
	v_fma_f16 v32, v92, 0xb5ac, -v31
	v_fmamk_f16 v53, v65, 0xb9fd, v85
	v_pk_fma_f16 v94, 0x2fb7, v65, v100 op_sel:[0,0,1] op_sel_hi:[0,1,0] neg_lo:[0,0,1] neg_hi:[0,0,1]
	v_add_f16_e32 v31, v10, v23
	v_add_f16_e32 v23, v20, v97
	;; [unrolled: 1-line block ×5, first 2 shown]
	v_pk_add_f16 v53, v94, v101
	v_mul_lo_u16 v39, v34, 13
	global_wb scope:SCOPE_SE
	s_wait_kmcnt 0x0
	s_barrier_signal -1
	s_barrier_wait -1
	global_inv scope:SCOPE_SE
	s_and_saveexec_b32 s0, vcc_lo
	s_cbranch_execz .LBB0_7
; %bb.6:
	v_pk_add_f16 v7, v7, v6
	v_mul_f16_e32 v96, 0x388b, v56
	v_mul_f16_e32 v102, 0xb5ac, v59
	;; [unrolled: 1-line block ×4, first 2 shown]
	v_pk_add_f16 v7, v11, v7
	v_sub_f16_e32 v27, v96, v27
	v_mul_f16_e32 v98, 0x2fb7, v56
	v_mul_f16_e32 v56, 0xb5ac, v56
	;; [unrolled: 1-line block ×3, first 2 shown]
	v_pk_add_f16 v7, v12, v7
	v_add_f16_e32 v27, v27, v6
	v_sub_f16_e32 v26, v102, v26
	v_mul_f16_e32 v97, 0x388b, v57
	v_mul_f16_e32 v99, 0x2fb7, v57
	v_pk_add_f16 v7, v8, v7
	v_mul_f16_e32 v57, 0xb5ac, v57
	v_mul_f16_e32 v100, 0x388b, v59
	v_mul_f16_e32 v101, 0x388b, v60
	v_sub_f16_e32 v49, v56, v49
	v_sub_f16_e32 v36, v98, v36
	v_add_f16_e32 v26, v26, v27
	v_sub_f16_e32 v12, v108, v37
	v_add_f16_e32 v21, v21, v95
	v_sub_f16_e32 v22, v94, v22
	v_pk_add_f16 v7, v9, v7
	v_mul_f16_e32 v103, 0xb5ac, v60
	v_mul_f16_e32 v104, 0xbbc4, v59
	v_mul_f16_e32 v105, 0xbbc4, v60
	v_mul_f16_e32 v60, 0xb9fd, v60
	v_add_f16_e32 v54, v54, v57
	v_add_f16_e32 v38, v38, v99
	;; [unrolled: 1-line block ×3, first 2 shown]
	v_mul_f16_e32 v59, 0xb9fd, v59
	v_mul_f16_e32 v106, 0x2fb7, v62
	;; [unrolled: 1-line block ×3, first 2 shown]
	v_add_f16_e32 v49, v49, v6
	v_add_f16_e32 v36, v36, v6
	;; [unrolled: 1-line block ×6, first 2 shown]
	v_sub_f16_e32 v9, v100, v24
	v_pk_add_f16 v4, v4, v7
	v_mul_f16_e32 v109, 0xbbc4, v64
	v_mul_f16_e32 v110, 0xb5ac, v62
	;; [unrolled: 1-line block ×4, first 2 shown]
	v_add_f16_e32 v54, v54, v67
	v_add_f16_e32 v58, v58, v60
	;; [unrolled: 1-line block ×4, first 2 shown]
	v_sub_f16_e32 v47, v104, v47
	v_add_f16_e32 v29, v29, v67
	v_add_f16_e32 v42, v42, v103
	v_mul_f16_e32 v62, 0x3b15, v62
	v_sub_f16_e32 v52, v59, v52
	v_mul_f16_e32 v57, 0xb5ac, v61
	v_mul_f16_e32 v112, 0xb5ac, v87
	v_add_f16_e32 v12, v21, v12
	v_add_f16_e32 v21, v66, v107
	;; [unrolled: 1-line block ×3, first 2 shown]
	v_sub_f16_e32 v7, v106, v28
	v_pk_add_f16 v4, v5, v4
	v_mul_f16_e32 v113, 0xb9fd, v61
	v_mul_f16_e32 v114, 0xb9fd, v87
	;; [unrolled: 1-line block ×5, first 2 shown]
	v_add_f16_e32 v54, v58, v54
	v_add_f16_e32 v58, v84, v64
	;; [unrolled: 1-line block ×5, first 2 shown]
	v_sub_f16_e32 v47, v110, v72
	v_add_f16_e32 v29, v42, v29
	v_add_f16_e32 v42, v70, v109
	v_mul_f16_e32 v61, 0x2fb7, v61
	v_add_f16_e32 v49, v52, v49
	v_sub_f16_e32 v62, v62, v81
	v_mul_f16_e32 v64, 0xb9fd, v63
	v_mul_f16_e32 v84, 0xb9fd, v89
	v_add_f16_e32 v9, v21, v12
	v_add_f16_e32 v5, v68, v112
	;; [unrolled: 1-line block ×3, first 2 shown]
	v_sub_f16_e32 v7, v57, v44
	v_pk_add_f16 v2, v2, v4
	v_mul_f16_e32 v116, 0x2fb7, v63
	v_mul_f16_e32 v117, 0x2fb7, v89
	v_add_f16_e32 v54, v58, v54
	v_mul_f16_e32 v58, 0x388b, v63
	v_mul_f16_e32 v56, 0x388b, v89
	;; [unrolled: 1-line block ×3, first 2 shown]
	v_add_f16_e32 v86, v86, v87
	v_add_f16_e32 v38, v48, v38
	;; [unrolled: 1-line block ×4, first 2 shown]
	v_sub_f16_e32 v47, v60, v77
	v_add_f16_e32 v29, v42, v29
	v_add_f16_e32 v42, v75, v114
	v_sub_f16_e32 v22, v113, v46
	v_mul_f16_e32 v63, 0xbbc4, v63
	v_add_f16_e32 v49, v62, v49
	v_sub_f16_e32 v61, v61, v83
	v_mul_f16_e32 v59, 0xbbc4, v65
	v_mul_f16_e32 v87, 0xbbc4, v92
	v_add_f16_e32 v4, v5, v9
	v_add_f16_e32 v5, v69, v84
	;; [unrolled: 1-line block ×3, first 2 shown]
	v_sub_f16_e32 v7, v64, v45
	v_pk_add_f16 v2, v3, v2
	v_add_f16_e32 v54, v86, v54
	v_mul_f16_e32 v86, 0x3b15, v65
	v_mul_f16_e32 v52, 0x3b15, v92
	;; [unrolled: 1-line block ×3, first 2 shown]
	v_add_f16_e32 v89, v91, v89
	v_mul_f16_e32 v91, 0x388b, v92
	v_mul_f16_e32 v92, 0xb9fd, v92
	v_add_f16_e32 v38, v48, v38
	v_add_f16_e32 v48, v80, v56
	;; [unrolled: 1-line block ×3, first 2 shown]
	v_sub_f16_e32 v47, v58, v79
	v_add_f16_e32 v29, v42, v29
	v_add_f16_e32 v42, v73, v117
	;; [unrolled: 1-line block ×3, first 2 shown]
	v_sub_f16_e32 v12, v116, v50
	v_mul_f16_e32 v65, 0x388b, v65
	v_add_f16_e32 v49, v61, v49
	v_sub_f16_e32 v61, v63, v88
	v_add_f16_e32 v4, v5, v4
	v_add_f16_e32 v5, v71, v87
	;; [unrolled: 1-line block ×3, first 2 shown]
	v_pk_add_f16 v0, v0, v2
	v_sub_f16_e32 v2, v59, v51
	v_add_f16_e32 v38, v48, v38
	v_add_f16_e32 v48, v82, v92
	v_add_f16_e32 v36, v47, v36
	v_sub_f16_e32 v47, v81, v85
	v_add_f16_e32 v29, v42, v29
	v_add_f16_e32 v27, v76, v52
	v_add_f16_e32 v3, v12, v8
	;; [unrolled: 4-line block ×3, first 2 shown]
	v_sub_f16_e32 v61, v65, v90
	v_add_f16_e32 v4, v5, v4
	v_and_b32_e32 v5, 0xffff, v39
	v_pk_add_f16 v0, v1, v0
	v_add_f16_e32 v1, v2, v6
	v_add_f16_e32 v11, v48, v38
	;; [unrolled: 1-line block ×7, first 2 shown]
	v_add_lshl_u32 v5, v15, v5, 2
	v_pk_add_f16 v0, v19, v0
	v_pack_b32_f16 v1, v1, v4
	v_pack_b32_f16 v4, v36, v11
	;; [unrolled: 1-line block ×4, first 2 shown]
	v_perm_b32 v6, v23, v10, 0x5040100
	v_bfi_b32 v7, 0xffff, v13, v53
	v_bfi_b32 v8, 0xffff, v53, v13
	v_perm_b32 v9, v31, v30, 0x5040100
	v_perm_b32 v11, v32, v14, 0x5040100
	;; [unrolled: 1-line block ×5, first 2 shown]
	ds_store_2addr_b32 v5, v0, v1 offset1:1
	ds_store_2addr_b32 v5, v2, v4 offset0:2 offset1:3
	ds_store_2addr_b32 v5, v3, v6 offset0:4 offset1:5
	;; [unrolled: 1-line block ×5, first 2 shown]
	ds_store_b32 v5, v21 offset:48
.LBB0_7:
	s_wait_alu 0xfffe
	s_or_b32 exec_lo, exec_lo, s0
	v_add_lshl_u32 v37, v15, v34, 2
	global_wb scope:SCOPE_SE
	s_wait_dscnt 0x0
	s_barrier_signal -1
	s_barrier_wait -1
	global_inv scope:SCOPE_SE
	v_add_nc_u32_e32 v0, 0x200, v37
	v_cmp_gt_u16_e64 s0, 52, v34
	v_lshrrev_b32_e32 v19, 16, v13
	ds_load_2addr_b32 v[8:9], v37 offset1:117
	ds_load_2addr_b32 v[21:22], v0 offset0:106 offset1:223
	ds_load_b32 v12, v37 offset:1872
	s_and_saveexec_b32 s1, s0
	s_cbranch_execz .LBB0_9
; %bb.8:
	v_add_nc_u32_e32 v0, 0x400, v37
	ds_load_2addr_b32 v[10:11], v37 offset0:65 offset1:182
	ds_load_b32 v30, v37 offset:2132
	ds_load_2addr_b32 v[13:14], v0 offset0:43 offset1:160
	s_wait_dscnt 0x2
	v_lshrrev_b32_e32 v23, 16, v10
	v_lshrrev_b32_e32 v19, 16, v11
	s_wait_dscnt 0x1
	v_lshrrev_b32_e32 v31, 16, v30
	s_wait_dscnt 0x0
	v_lshrrev_b32_e32 v32, 16, v14
	v_bfi_b32 v53, 0xffff, v11, v13
.LBB0_9:
	s_wait_alu 0xfffe
	s_or_b32 exec_lo, exec_lo, s1
	v_and_b32_e32 v0, 0xff, v34
	v_add_nc_u16 v1, v34, 0x41
	s_wait_dscnt 0x2
	v_lshrrev_b32_e32 v26, 16, v9
	s_wait_dscnt 0x1
	v_lshrrev_b32_e32 v27, 16, v21
	;; [unrolled: 2-line block ×3, first 2 shown]
	v_mul_lo_u16 v0, 0x4f, v0
	v_lshrrev_b32_e32 v29, 16, v53
	v_lshrrev_b32_e32 v36, 16, v8
	s_load_b128 s[4:7], s[4:5], 0x0
	s_delay_alu instid0(VALU_DEP_3) | instskip(SKIP_1) | instid1(VALU_DEP_2)
	v_lshrrev_b16 v11, 10, v0
	v_and_b32_e32 v0, 0xff, v1
	v_mul_lo_u16 v2, v11, 13
	s_delay_alu instid0(VALU_DEP_2) | instskip(SKIP_1) | instid1(VALU_DEP_3)
	v_mul_lo_u16 v0, 0x4f, v0
	v_and_b32_e32 v11, 0xffff, v11
	v_sub_nc_u16 v2, v34, v2
	s_delay_alu instid0(VALU_DEP_3) | instskip(NEXT) | instid1(VALU_DEP_3)
	v_lshrrev_b16 v24, 10, v0
	v_mul_u32_u24_e32 v11, 0x41, v11
	s_delay_alu instid0(VALU_DEP_3) | instskip(NEXT) | instid1(VALU_DEP_3)
	v_and_b32_e32 v25, 0xff, v2
	v_mul_lo_u16 v0, v24, 13
	v_and_b32_e32 v42, 0xffff, v24
	s_delay_alu instid0(VALU_DEP_3) | instskip(NEXT) | instid1(VALU_DEP_3)
	v_lshlrev_b32_e32 v2, 4, v25
	v_sub_nc_u16 v0, v1, v0
	v_add_nc_u32_e32 v11, v11, v25
	v_lshrrev_b32_e32 v25, 16, v22
	global_load_b128 v[4:7], v2, s[2:3]
	v_and_b32_e32 v38, 0xff, v0
	v_add_lshl_u32 v48, v15, v11, 2
	s_delay_alu instid0(VALU_DEP_2)
	v_lshlrev_b32_e32 v0, 4, v38
	global_load_b128 v[0:3], v0, s[2:3]
	global_wb scope:SCOPE_SE
	s_wait_loadcnt 0x0
	s_wait_kmcnt 0x0
	s_barrier_signal -1
	s_barrier_wait -1
	global_inv scope:SCOPE_SE
	v_lshrrev_b32_e32 v51, 16, v4
	v_lshrrev_b32_e32 v52, 16, v5
	;; [unrolled: 1-line block ×4, first 2 shown]
	s_delay_alu instid0(VALU_DEP_4)
	v_mul_f16_e32 v11, v26, v51
	v_mul_f16_e32 v54, v9, v51
	;; [unrolled: 1-line block ×8, first 2 shown]
	v_lshrrev_b32_e32 v44, 16, v0
	v_lshrrev_b32_e32 v47, 16, v1
	;; [unrolled: 1-line block ×4, first 2 shown]
	v_fma_f16 v60, v9, v4, -v11
	v_fmac_f16_e32 v54, v26, v4
	v_fma_f16 v26, v21, v5, -v24
	v_fmac_f16_e32 v55, v27, v5
	;; [unrolled: 2-line block ×4, first 2 shown]
	v_mul_f16_e32 v12, v19, v44
	v_mul_f16_e32 v24, v53, v44
	v_mul_f16_e32 v22, v29, v47
	v_mul_f16_e32 v21, v13, v47
	v_mul_f16_e32 v28, v32, v46
	v_mul_f16_e32 v11, v14, v46
	v_mul_f16_e32 v58, v31, v45
	v_mul_f16_e32 v9, v30, v45
	v_fma_f16 v25, v53, v0, -v12
	v_fmac_f16_e32 v24, v19, v0
	v_fma_f16 v22, v13, v1, -v22
	v_fmac_f16_e32 v21, v29, v1
	;; [unrolled: 2-line block ×3, first 2 shown]
	v_fma_f16 v12, v30, v3, -v58
	v_add_f16_e32 v14, v8, v60
	v_add_f16_e32 v19, v26, v27
	v_sub_f16_e32 v28, v60, v26
	v_sub_f16_e32 v29, v56, v27
	v_add_f16_e32 v30, v60, v56
	v_add_f16_e32 v61, v36, v54
	;; [unrolled: 1-line block ×4, first 2 shown]
	v_fmac_f16_e32 v9, v31, v3
	v_sub_f16_e32 v53, v54, v59
	v_sub_f16_e32 v58, v55, v57
	;; [unrolled: 1-line block ×7, first 2 shown]
	v_add_f16_e32 v68, v14, v26
	v_fma_f16 v69, -0.5, v19, v8
	v_add_f16_e32 v70, v28, v29
	v_fmac_f16_e32 v8, -0.5, v30
	v_add_f16_e32 v19, v61, v55
	v_fma_f16 v55, -0.5, v62, v36
	v_add_f16_e32 v28, v22, v13
	v_add_f16_e32 v61, v21, v11
	v_sub_f16_e32 v63, v26, v27
	v_fmac_f16_e32 v36, -0.5, v66
	v_sub_f16_e32 v32, v27, v56
	v_sub_f16_e32 v65, v59, v57
	v_add_f16_e32 v54, v54, v67
	v_sub_f16_e32 v14, v24, v9
	v_sub_f16_e32 v29, v25, v12
	v_add_f16_e32 v66, v68, v27
	v_fmamk_f16 v67, v53, 0x3b9c, v69
	v_fmamk_f16 v68, v58, 0xbb9c, v8
	v_fmac_f16_e32 v8, 0x3b9c, v58
	v_add_f16_e32 v19, v19, v57
	v_fmamk_f16 v57, v60, 0xbb9c, v55
	v_fma_f16 v27, -0.5, v28, v10
	v_fma_f16 v28, -0.5, v61, v23
	v_fmamk_f16 v72, v63, 0x3b9c, v36
	v_fmac_f16_e32 v36, 0xbb9c, v63
	v_fmac_f16_e32 v69, 0xbb9c, v53
	;; [unrolled: 1-line block ×3, first 2 shown]
	v_add_f16_e32 v71, v31, v32
	v_add_f16_e32 v62, v64, v65
	v_sub_f16_e32 v26, v21, v11
	v_sub_f16_e32 v31, v25, v22
	;; [unrolled: 1-line block ×6, first 2 shown]
	v_fmac_f16_e32 v67, 0x38b4, v58
	v_fmac_f16_e32 v68, 0x38b4, v53
	v_fmac_f16_e32 v8, 0xb8b4, v53
	v_add_f16_e32 v53, v19, v59
	v_fmac_f16_e32 v57, 0xb8b4, v63
	v_fmamk_f16 v19, v14, 0xbb9c, v27
	v_fmamk_f16 v61, v29, 0x3b9c, v28
	v_fmac_f16_e32 v72, 0xb8b4, v60
	v_fmac_f16_e32 v36, 0x38b4, v60
	;; [unrolled: 1-line block ×4, first 2 shown]
	v_add_f16_e32 v32, v31, v32
	v_add_f16_e32 v31, v64, v65
	;; [unrolled: 1-line block ×3, first 2 shown]
	v_fmac_f16_e32 v67, 0x34f2, v70
	v_fmac_f16_e32 v57, 0x34f2, v62
	;; [unrolled: 1-line block ×10, first 2 shown]
	v_pack_b32_f16 v53, v56, v53
	v_fmac_f16_e32 v19, 0x34f2, v32
	v_pack_b32_f16 v54, v67, v57
	v_fmac_f16_e32 v61, 0x34f2, v31
	v_pack_b32_f16 v56, v68, v72
	v_pack_b32_f16 v8, v8, v36
	;; [unrolled: 1-line block ×3, first 2 shown]
	ds_store_2addr_b32 v48, v53, v54 offset1:13
	ds_store_2addr_b32 v48, v56, v8 offset0:26 offset1:39
	ds_store_b32 v48, v36 offset:208
	s_and_saveexec_b32 s1, s0
	s_cbranch_execz .LBB0_11
; %bb.10:
	v_add_f16_e32 v8, v24, v9
	v_add_f16_e32 v56, v25, v12
	v_mul_f16_e32 v36, 0x3b9c, v14
	v_mul_f16_e32 v54, 0x3b9c, v29
	;; [unrolled: 1-line block ×3, first 2 shown]
	v_fma_f16 v8, -0.5, v8, v23
	v_fma_f16 v56, -0.5, v56, v10
	v_add_f16_e32 v23, v23, v24
	v_add_f16_e32 v10, v10, v25
	v_mul_f16_e32 v53, 0x38b4, v26
	v_fmamk_f16 v59, v30, 0xbb9c, v8
	v_fmac_f16_e32 v8, 0x3b9c, v30
	v_fmamk_f16 v30, v26, 0x3b9c, v56
	v_fmac_f16_e32 v56, 0xbb9c, v26
	v_sub_f16_e32 v57, v21, v24
	v_sub_f16_e32 v24, v28, v54
	v_add_f16_e32 v21, v23, v21
	v_fmac_f16_e32 v30, 0xb8b4, v14
	v_fmac_f16_e32 v56, 0x38b4, v14
	v_add_f16_e32 v10, v10, v22
	v_add_f16_e32 v14, v27, v36
	v_sub_f16_e32 v58, v11, v9
	v_sub_f16_e32 v60, v22, v25
	v_sub_f16_e32 v62, v13, v12
	v_mul_f16_e32 v32, 0x34f2, v32
	v_mul_f16_e32 v31, 0x34f2, v31
	v_sub_f16_e32 v22, v24, v55
	v_add_f16_e32 v11, v21, v11
	v_mul_u32_u24_e32 v21, 0x41, v42
	v_add_f16_e32 v10, v10, v13
	v_add_f16_e32 v13, v53, v14
	;; [unrolled: 1-line block ×3, first 2 shown]
	v_fmac_f16_e32 v59, 0x38b4, v29
	v_add_f16_e32 v58, v60, v62
	v_fmac_f16_e32 v8, 0xb8b4, v29
	v_add_f16_e32 v14, v31, v22
	v_add_f16_e32 v9, v11, v9
	v_add_nc_u32_e32 v11, v21, v38
	v_add_f16_e32 v10, v10, v12
	v_add_f16_e32 v12, v32, v13
	v_fmac_f16_e32 v59, 0x34f2, v57
	v_fmac_f16_e32 v8, 0x34f2, v57
	v_fmac_f16_e32 v56, 0x34f2, v58
	v_fmac_f16_e32 v30, 0x34f2, v58
	v_add_lshl_u32 v11, v15, v11, 2
	v_pack_b32_f16 v9, v10, v9
	v_pack_b32_f16 v10, v12, v14
	;; [unrolled: 1-line block ×4, first 2 shown]
	v_perm_b32 v13, v61, v19, 0x5040100
	ds_store_2addr_b32 v11, v9, v10 offset1:13
	ds_store_2addr_b32 v11, v8, v12 offset0:26 offset1:39
	ds_store_b32 v11, v13 offset:208
.LBB0_11:
	s_wait_alu 0xfffe
	s_or_b32 exec_lo, exec_lo, s1
	v_lshlrev_b32_e32 v12, 5, v34
	global_wb scope:SCOPE_SE
	s_wait_dscnt 0x0
	s_barrier_signal -1
	s_barrier_wait -1
	global_inv scope:SCOPE_SE
	s_clause 0x1
	global_load_b128 v[8:11], v12, s[2:3] offset:208
	global_load_b128 v[12:15], v12, s[2:3] offset:224
	v_add_nc_u32_e32 v23, 0x200, v37
	v_add_nc_u32_e32 v25, 0x400, v37
	;; [unrolled: 1-line block ×3, first 2 shown]
	ds_load_b32 v32, v37
	ds_load_2addr_b32 v[21:22], v37 offset0:65 offset1:130
	ds_load_2addr_b32 v[23:24], v23 offset0:67 offset1:132
	;; [unrolled: 1-line block ×4, first 2 shown]
	v_lshl_add_u32 v36, v34, 2, v35
	s_delay_alu instid0(VALU_DEP_1)
	v_add_nc_u32_e32 v29, 0x200, v36
	v_add_nc_u32_e32 v30, 0x400, v36
	;; [unrolled: 1-line block ×3, first 2 shown]
	s_wait_dscnt 0x2
	v_lshrrev_b32_e32 v65, 16, v24
	v_lshrrev_b32_e32 v62, 16, v21
	;; [unrolled: 1-line block ×3, first 2 shown]
	s_wait_dscnt 0x1
	v_lshrrev_b32_e32 v66, 16, v25
	s_wait_dscnt 0x0
	v_lshrrev_b32_e32 v68, 16, v27
	v_lshrrev_b32_e32 v69, 16, v28
	;; [unrolled: 1-line block ×5, first 2 shown]
	s_wait_loadcnt 0x1
	v_lshrrev_b32_e32 v60, 16, v8
	v_lshrrev_b32_e32 v59, 16, v9
	;; [unrolled: 1-line block ×3, first 2 shown]
	s_wait_loadcnt 0x0
	v_lshrrev_b32_e32 v56, 16, v12
	v_lshrrev_b32_e32 v54, 16, v14
	;; [unrolled: 1-line block ×5, first 2 shown]
	v_mul_f16_e32 v71, v62, v60
	v_mul_f16_e32 v72, v21, v60
	;; [unrolled: 1-line block ×16, first 2 shown]
	v_fma_f16 v21, v21, v8, -v71
	v_fmac_f16_e32 v72, v62, v8
	v_fma_f16 v22, v22, v9, -v73
	v_fmac_f16_e32 v74, v63, v9
	v_fma_f16 v24, v24, v11, -v77
	v_fma_f16 v25, v25, v12, -v79
	;; [unrolled: 1-line block ×3, first 2 shown]
	v_fmac_f16_e32 v86, v69, v15
	v_fma_f16 v27, v27, v14, -v83
	v_fmac_f16_e32 v84, v68, v14
	v_fma_f16 v23, v23, v10, -v75
	v_fmac_f16_e32 v76, v64, v10
	v_fmac_f16_e32 v78, v65, v11
	;; [unrolled: 1-line block ×3, first 2 shown]
	v_fma_f16 v26, v26, v13, -v81
	v_fmac_f16_e32 v82, v67, v13
	v_add_f16_e32 v65, v21, v28
	v_add_f16_e32 v67, v72, v86
	;; [unrolled: 1-line block ×4, first 2 shown]
	v_sub_f16_e32 v28, v21, v28
	v_sub_f16_e32 v62, v24, v25
	v_add_f16_e32 v71, v23, v26
	v_add_f16_e32 v73, v76, v82
	v_sub_f16_e32 v69, v72, v86
	v_sub_f16_e32 v22, v22, v27
	v_sub_f16_e32 v27, v74, v84
	v_add_f16_e32 v72, v24, v25
	v_add_f16_e32 v74, v78, v80
	v_mul_f16_e32 v75, 0x3924, v28
	v_mul_f16_e32 v81, 0xb924, v62
	v_add_f16_e32 v87, v66, v65
	v_add_f16_e32 v88, v68, v67
	v_mul_f16_e32 v89, 0x3be1, v62
	v_sub_f16_e32 v23, v23, v26
	v_sub_f16_e32 v26, v76, v82
	v_mul_f16_e32 v76, 0x3924, v69
	v_fmac_f16_e32 v75, 0x3be1, v22
	v_fmac_f16_e32 v81, 0x3be1, v28
	v_add_f16_e32 v91, v72, v87
	v_add_f16_e32 v92, v74, v88
	v_fma_f16 v89, v22, 0xb924, -v89
	v_add_f16_e32 v87, v71, v87
	v_add_f16_e32 v88, v73, v88
	;; [unrolled: 1-line block ×3, first 2 shown]
	v_fmac_f16_e32 v76, 0x3be1, v27
	v_fmac_f16_e32 v75, 0x3aee, v23
	;; [unrolled: 1-line block ×4, first 2 shown]
	v_add_f16_e32 v23, v24, v87
	v_add_f16_e32 v24, v78, v88
	v_sub_f16_e32 v63, v78, v80
	v_sub_f16_e32 v85, v85, v22
	v_fmac_f16_e32 v76, 0x3aee, v26
	v_fmac_f16_e32 v81, 0x3579, v22
	v_add_f16_e32 v22, v25, v23
	v_add_f16_e32 v23, v80, v24
	v_fmamk_f16 v77, v65, 0x3a21, v32
	v_fmamk_f16 v79, v67, 0x3a21, v70
	v_mul_f16_e32 v82, 0xb924, v63
	v_fmamk_f16 v83, v72, 0x3a21, v32
	v_fmamk_f16 v84, v74, 0x3a21, v70
	v_add_f16_e32 v86, v63, v69
	v_add_f16_e32 v21, v71, v32
	v_add_f16_e32 v64, v73, v70
	v_mul_f16_e32 v90, 0x3be1, v63
	v_fmac_f16_e32 v75, 0x3579, v62
	v_fmac_f16_e32 v76, 0x3579, v63
	v_add_f16_e32 v62, v22, v32
	v_add_f16_e32 v63, v23, v70
	v_fmac_f16_e32 v32, 0x3a21, v66
	v_fmac_f16_e32 v70, 0x3a21, v68
	;; [unrolled: 1-line block ×7, first 2 shown]
	v_fma_f16 v90, v27, 0xb924, -v90
	v_fmac_f16_e32 v32, 0x318f, v72
	v_fmac_f16_e32 v70, 0x318f, v74
	v_fmac_f16_e32 v77, -0.5, v71
	v_fmac_f16_e32 v79, -0.5, v73
	v_fmac_f16_e32 v82, 0xbaee, v26
	v_fmac_f16_e32 v83, -0.5, v71
	v_fmac_f16_e32 v84, -0.5, v73
	;; [unrolled: 3-line block ×3, first 2 shown]
	v_fmac_f16_e32 v77, 0xbb84, v72
	v_fmac_f16_e32 v79, 0xbb84, v74
	;; [unrolled: 1-line block ×5, first 2 shown]
	v_sub_f16_e32 v86, v86, v27
	v_fmac_f16_e32 v21, -0.5, v91
	v_fmac_f16_e32 v64, -0.5, v92
	v_fmac_f16_e32 v89, 0x3579, v28
	v_fmac_f16_e32 v90, 0x3579, v69
	;; [unrolled: 1-line block ×4, first 2 shown]
	v_add_f16_e32 v27, v76, v77
	v_sub_f16_e32 v69, v79, v75
	v_add_f16_e32 v28, v82, v83
	v_sub_f16_e32 v68, v84, v81
	v_mul_f16_e32 v93, 0x3aee, v85
	v_mul_f16_e32 v94, 0x3aee, v86
	v_fmac_f16_e32 v21, 0x3aee, v86
	v_fmac_f16_e32 v64, 0xbaee, v85
	v_add_f16_e32 v22, v90, v32
	v_sub_f16_e32 v70, v70, v89
	v_fma_f16 v26, -2.0, v76, v27
	v_fma_f16 v65, 2.0, v75, v69
	v_fma_f16 v25, -2.0, v82, v28
	v_fma_f16 v67, 2.0, v81, v68
	;; [unrolled: 2-line block ×4, first 2 shown]
	v_pack_b32_f16 v32, v62, v63
	v_pack_b32_f16 v73, v27, v69
	;; [unrolled: 1-line block ×9, first 2 shown]
	ds_store_b32 v36, v32
	ds_store_2addr_b32 v36, v73, v74 offset0:65 offset1:130
	ds_store_2addr_b32 v31, v76, v77 offset0:71 offset1:136
	ds_store_2addr_b32 v29, v72, v78 offset0:67 offset1:132
	ds_store_2addr_b32 v30, v79, v75 offset0:69 offset1:134
	global_wb scope:SCOPE_SE
	s_wait_dscnt 0x0
	s_barrier_signal -1
	s_barrier_wait -1
	global_inv scope:SCOPE_SE
	s_and_saveexec_b32 s1, vcc_lo
	s_cbranch_execz .LBB0_13
; %bb.12:
	global_load_b32 v32, v33, s[20:21] offset:2340
	s_add_nc_u64 s[2:3], s[20:21], 0x924
	s_clause 0xb
	global_load_b32 v84, v33, s[2:3] offset:180
	global_load_b32 v85, v33, s[2:3] offset:360
	;; [unrolled: 1-line block ×12, first 2 shown]
	ds_load_b32 v72, v36
	s_wait_dscnt 0x0
	v_lshrrev_b32_e32 v73, 16, v72
	s_wait_loadcnt 0xa
	v_lshrrev_b32_e32 v96, 16, v85
	s_wait_loadcnt 0x9
	;; [unrolled: 2-line block ×7, first 2 shown]
	v_lshrrev_b32_e32 v102, 16, v91
	v_lshrrev_b32_e32 v74, 16, v32
	s_wait_loadcnt 0x3
	v_lshrrev_b32_e32 v103, 16, v92
	s_wait_loadcnt 0x2
	v_lshrrev_b32_e32 v104, 16, v93
	s_wait_loadcnt 0x1
	v_lshrrev_b32_e32 v105, 16, v94
	s_wait_loadcnt 0x0
	v_lshrrev_b32_e32 v106, 16, v95
	v_mul_f16_e32 v75, v73, v74
	v_mul_f16_e32 v74, v72, v74
	s_delay_alu instid0(VALU_DEP_2) | instskip(NEXT) | instid1(VALU_DEP_2)
	v_fma_f16 v72, v72, v32, -v75
	v_fmac_f16_e32 v74, v73, v32
	s_delay_alu instid0(VALU_DEP_1)
	v_pack_b32_f16 v32, v72, v74
	ds_store_b32 v36, v32
	ds_load_2addr_b32 v[72:73], v36 offset0:45 offset1:90
	ds_load_2addr_b32 v[74:75], v36 offset0:135 offset1:180
	;; [unrolled: 1-line block ×6, first 2 shown]
	v_lshrrev_b32_e32 v32, 16, v84
	s_wait_dscnt 0x5
	v_lshrrev_b32_e32 v107, 16, v72
	v_lshrrev_b32_e32 v109, 16, v73
	s_wait_dscnt 0x4
	v_lshrrev_b32_e32 v111, 16, v74
	;; [unrolled: 3-line block ×5, first 2 shown]
	v_lshrrev_b32_e32 v125, 16, v81
	v_mul_f16_e32 v108, v72, v32
	v_mul_f16_e32 v110, v73, v96
	s_wait_dscnt 0x0
	v_lshrrev_b32_e32 v127, 16, v82
	v_lshrrev_b32_e32 v129, 16, v83
	v_mul_f16_e32 v32, v107, v32
	v_mul_f16_e32 v96, v109, v96
	;; [unrolled: 1-line block ×18, first 2 shown]
	v_mul_f16_e64 v128, v82, v105
	v_mul_f16_e64 v130, v83, v106
	v_fmac_f16_e32 v108, v107, v84
	v_fmac_f16_e32 v110, v109, v85
	v_mul_f16_e32 v105, v127, v105
	v_mul_f16_e64 v106, v129, v106
	v_fma_f16 v32, v72, v84, -v32
	v_fma_f16 v72, v73, v85, -v96
	v_fmac_f16_e32 v112, v111, v86
	v_fmac_f16_e32 v114, v113, v87
	v_fma_f16 v73, v74, v86, -v97
	v_fma_f16 v74, v75, v87, -v98
	v_fmac_f16_e32 v116, v115, v88
	v_fmac_f16_e32 v118, v117, v89
	;; [unrolled: 4-line block ×4, first 2 shown]
	v_fma_f16 v79, v80, v92, -v103
	v_fma_f16 v80, v81, v93, -v104
	v_fmac_f16_e64 v128, v127, v94
	v_fmac_f16_e64 v130, v129, v95
	v_fma_f16 v81, v82, v94, -v105
	v_fma_f16 v82, v83, v95, -v106
	v_pack_b32_f16 v32, v32, v108
	v_pack_b32_f16 v72, v72, v110
	;; [unrolled: 1-line block ×12, first 2 shown]
	ds_store_2addr_b32 v36, v32, v72 offset0:45 offset1:90
	ds_store_2addr_b32 v36, v73, v74 offset0:135 offset1:180
	;; [unrolled: 1-line block ×6, first 2 shown]
.LBB0_13:
	s_wait_alu 0xfffe
	s_or_b32 exec_lo, exec_lo, s1
	global_wb scope:SCOPE_SE
	s_wait_dscnt 0x0
	s_barrier_signal -1
	s_barrier_wait -1
	global_inv scope:SCOPE_SE
	s_and_saveexec_b32 s1, vcc_lo
	s_cbranch_execz .LBB0_15
; %bb.14:
	v_add_nc_u32_e32 v17, 0x200, v36
	v_add_nc_u32_e32 v18, 0x400, v36
	ds_load_b32 v62, v36
	ds_load_2addr_b32 v[27:28], v36 offset0:45 offset1:90
	ds_load_2addr_b32 v[21:22], v36 offset0:135 offset1:180
	;; [unrolled: 1-line block ×3, first 2 shown]
	v_add_nc_u32_e32 v17, 0x600, v36
	ds_load_2addr_b32 v[25:26], v18 offset0:59 offset1:104
	ds_load_2addr_b32 v[19:20], v18 offset0:149 offset1:194
	;; [unrolled: 1-line block ×3, first 2 shown]
	s_wait_dscnt 0x6
	v_lshrrev_b32_e32 v63, 16, v62
	s_wait_dscnt 0x5
	v_lshrrev_b32_e32 v69, 16, v27
	v_lshrrev_b32_e32 v68, 16, v28
	s_wait_dscnt 0x4
	v_lshrrev_b32_e32 v64, 16, v21
	;; [unrolled: 3-line block ×6, first 2 shown]
	v_lshrrev_b32_e32 v40, 16, v18
.LBB0_15:
	s_wait_alu 0xfffe
	s_or_b32 exec_lo, exec_lo, s1
	s_delay_alu instid0(VALU_DEP_1)
	v_sub_f16_e32 v86, v69, v40
	v_add_f16_e32 v90, v40, v69
	v_add_f16_e32 v78, v18, v27
	v_sub_f16_e32 v89, v68, v41
	v_sub_f16_e32 v79, v27, v18
	v_mul_f16_e32 v100, 0xbb7b, v86
	v_mul_f16_e32 v102, 0xb5ac, v90
	;; [unrolled: 1-line block ×3, first 2 shown]
	v_add_f16_e32 v94, v41, v68
	v_add_f16_e32 v80, v17, v28
	v_fma_f16 v31, v78, 0xb5ac, -v100
	v_mul_f16_e32 v104, 0x394e, v89
	v_mul_f16_e32 v30, 0xb9fd, v90
	v_fmamk_f16 v32, v79, 0xbb7b, v102
	v_fmamk_f16 v72, v78, 0xb9fd, v29
	v_mul_f16_e32 v73, 0xb3a8, v86
	v_add_f16_e32 v31, v62, v31
	v_fma_f16 v29, v78, 0xb9fd, -v29
	v_sub_f16_e32 v81, v28, v17
	v_mul_f16_e32 v105, 0xb9fd, v94
	v_mul_f16_e32 v82, 0x3bf1, v89
	v_fma_f16 v83, v80, 0xb9fd, -v104
	v_mul_f16_e32 v74, 0xbbc4, v90
	v_add_f16_e32 v32, v63, v32
	v_add_f16_e32 v72, v62, v72
	v_fmamk_f16 v75, v79, 0x394e, v30
	v_fmamk_f16 v76, v78, 0xbbc4, v73
	v_add_f16_e32 v29, v62, v29
	v_fmamk_f16 v84, v81, 0x394e, v105
	v_fmamk_f16 v85, v80, 0x2fb7, v82
	v_mul_f16_e32 v87, 0x2fb7, v94
	v_add_f16_e32 v31, v83, v31
	v_mul_f16_e32 v83, 0x3770, v89
	v_fma_f16 v82, v80, 0x2fb7, -v82
	v_sub_f16_e32 v93, v64, v43
	v_fmamk_f16 v77, v79, 0x33a8, v74
	v_add_f16_e32 v75, v63, v75
	v_add_f16_e32 v76, v62, v76
	v_add_f16_e32 v32, v84, v32
	v_add_f16_e32 v72, v85, v72
	v_fmamk_f16 v84, v81, 0xbbf1, v87
	v_mul_f16_e32 v85, 0x3b15, v94
	v_fmamk_f16 v88, v80, 0x3b15, v83
	v_add_f16_e32 v29, v82, v29
	v_add_f16_e32 v82, v20, v21
	v_mul_f16_e32 v106, 0x3770, v93
	v_fmac_f16_e32 v30, 0xb94e, v79
	v_add_f16_e32 v77, v63, v77
	v_fma_f16 v73, v78, 0xbbc4, -v73
	v_add_f16_e32 v75, v84, v75
	v_fmamk_f16 v84, v81, 0xb770, v85
	v_add_f16_e32 v76, v88, v76
	v_add_f16_e32 v96, v43, v64
	v_fma_f16 v88, v82, 0x3b15, -v106
	v_add_f16_e32 v30, v63, v30
	v_fmac_f16_e32 v74, 0xb3a8, v79
	v_add_f16_e32 v73, v62, v73
	v_fmac_f16_e32 v87, 0x3bf1, v81
	v_add_f16_e32 v77, v84, v77
	v_fma_f16 v84, v80, 0x3b15, -v83
	v_sub_f16_e32 v83, v21, v20
	v_mul_f16_e32 v107, 0x3b15, v96
	v_add_f16_e32 v31, v88, v31
	v_mul_f16_e32 v88, 0xb9fd, v96
	v_add_f16_e32 v74, v63, v74
	v_add_f16_e32 v30, v87, v30
	v_mul_f16_e32 v87, 0xba95, v93
	v_fmac_f16_e32 v85, 0x3770, v81
	v_add_f16_e32 v73, v84, v73
	v_fmamk_f16 v84, v83, 0x3770, v107
	v_fmamk_f16 v95, v83, 0x394e, v88
	;; [unrolled: 1-line block ×3, first 2 shown]
	v_add_f16_e32 v74, v85, v74
	v_mul_f16_e32 v85, 0x388b, v96
	v_add_f16_e32 v32, v84, v32
	v_mul_f16_e32 v84, 0xb94e, v93
	v_fma_f16 v87, v82, 0x388b, -v87
	v_add_f16_e32 v77, v95, v77
	v_sub_f16_e32 v95, v70, v61
	v_add_f16_e32 v72, v91, v72
	v_fmamk_f16 v91, v83, 0x3a95, v85
	v_fmamk_f16 v92, v82, 0xb9fd, v84
	v_add_f16_e32 v29, v87, v29
	v_fma_f16 v87, v82, 0xb9fd, -v84
	v_add_f16_e32 v84, v19, v22
	v_mul_f16_e32 v108, 0xbbf1, v95
	v_fmac_f16_e32 v85, 0xba95, v83
	v_add_f16_e32 v75, v91, v75
	v_add_f16_e32 v97, v61, v70
	v_mul_f16_e32 v91, 0x33a8, v95
	v_add_f16_e32 v73, v87, v73
	v_fma_f16 v87, v84, 0x2fb7, -v108
	v_add_f16_e32 v30, v85, v30
	v_sub_f16_e32 v85, v22, v19
	v_mul_f16_e32 v109, 0x2fb7, v97
	v_fmac_f16_e32 v88, 0xb94e, v83
	v_fmamk_f16 v98, v84, 0xbbc4, v91
	v_add_f16_e32 v31, v87, v31
	v_mul_f16_e32 v87, 0x3a95, v95
	v_add_f16_e32 v76, v92, v76
	v_fmamk_f16 v92, v85, 0xbbf1, v109
	v_add_f16_e32 v74, v88, v74
	v_mul_f16_e32 v88, 0xbbc4, v97
	v_add_f16_e32 v72, v98, v72
	v_fmamk_f16 v98, v84, 0x388b, v87
	v_add_f16_e32 v32, v92, v32
	v_mul_f16_e32 v101, 0x388b, v97
	v_fmamk_f16 v92, v85, 0xb3a8, v88
	v_fma_f16 v91, v84, 0xbbc4, -v91
	v_fmac_f16_e32 v88, 0x33a8, v85
	v_add_f16_e32 v76, v98, v76
	v_sub_f16_e32 v98, v71, v65
	v_add_f16_e32 v99, v65, v71
	v_add_f16_e32 v75, v92, v75
	v_fmamk_f16 v92, v85, 0xba95, v101
	v_add_f16_e32 v29, v91, v29
	v_add_f16_e32 v30, v88, v30
	v_fma_f16 v91, v84, 0x388b, -v87
	v_add_f16_e32 v87, v26, v23
	v_mul_f16_e32 v110, 0x33a8, v98
	v_sub_f16_e32 v88, v23, v26
	v_mul_f16_e32 v111, 0xbbc4, v99
	v_fmac_f16_e32 v101, 0x3a95, v85
	v_add_f16_e32 v77, v92, v77
	v_mul_f16_e32 v92, 0x3770, v98
	v_fma_f16 v103, v87, 0xbbc4, -v110
	v_add_f16_e32 v73, v91, v73
	v_fmamk_f16 v91, v88, 0x33a8, v111
	v_add_f16_e32 v74, v101, v74
	v_mul_f16_e32 v101, 0x3b15, v99
	v_fmamk_f16 v112, v87, 0x3b15, v92
	v_add_f16_e32 v31, v103, v31
	v_add_f16_e32 v32, v91, v32
	v_mul_f16_e32 v91, 0xbb7b, v98
	v_mul_f16_e32 v114, 0xb5ac, v99
	v_fmamk_f16 v103, v88, 0xb770, v101
	v_fmac_f16_e32 v101, 0x3770, v88
	v_add_f16_e32 v72, v112, v72
	v_fma_f16 v92, v87, 0x3b15, -v92
	v_fmamk_f16 v112, v87, 0xb5ac, v91
	v_fmamk_f16 v113, v88, 0x3b7b, v114
	v_add_f16_e32 v75, v103, v75
	v_add_f16_e32 v115, v101, v30
	v_sub_f16_e32 v101, v66, v67
	v_add_f16_e32 v103, v67, v66
	v_fma_f16 v30, v87, 0xb5ac, -v91
	v_add_f16_e32 v29, v92, v29
	v_add_f16_e32 v76, v112, v76
	;; [unrolled: 1-line block ×4, first 2 shown]
	v_sub_f16_e32 v92, v24, v25
	v_mul_f16_e32 v112, 0x3a95, v101
	v_mul_f16_e32 v113, 0x388b, v103
	v_add_f16_e32 v116, v30, v73
	v_mul_f16_e32 v73, 0xbb7b, v101
	v_fmac_f16_e32 v114, 0xbb7b, v88
	v_fma_f16 v30, v91, 0x388b, -v112
	v_fmamk_f16 v117, v92, 0x3a95, v113
	v_mul_f16_e32 v118, 0xb5ac, v103
	v_fmamk_f16 v119, v91, 0xb5ac, v73
	v_add_f16_e32 v114, v114, v74
	v_add_f16_e32 v30, v30, v31
	;; [unrolled: 1-line block ×3, first 2 shown]
	v_fmamk_f16 v31, v92, 0x3b7b, v118
	v_fma_f16 v32, v91, 0xb5ac, -v73
	v_add_f16_e32 v72, v119, v72
	v_mul_f16_e32 v117, 0x3bf1, v101
	v_mul_f16_e32 v119, 0x2fb7, v103
	v_add_f16_e32 v73, v31, v75
	v_add_f16_e32 v29, v32, v29
	v_fmac_f16_e32 v118, 0xbb7b, v92
	v_fmamk_f16 v31, v91, 0x2fb7, v117
	v_fmamk_f16 v32, v92, 0xbbf1, v119
	v_fma_f16 v117, v91, 0x2fb7, -v117
	v_fmac_f16_e32 v119, 0x3bf1, v92
	v_add_f16_e32 v75, v118, v115
	v_add_f16_e32 v31, v31, v76
	;; [unrolled: 1-line block ×5, first 2 shown]
	global_wb scope:SCOPE_SE
	s_barrier_signal -1
	s_barrier_wait -1
	global_inv scope:SCOPE_SE
	s_and_saveexec_b32 s1, vcc_lo
	s_cbranch_execz .LBB0_17
; %bb.16:
	v_mul_f16_e32 v114, 0xbb7b, v79
	v_mul_f16_e32 v117, 0x394e, v81
	;; [unrolled: 1-line block ×5, first 2 shown]
	v_sub_f16_e32 v102, v102, v114
	v_mul_f16_e32 v114, 0x3770, v83
	v_sub_f16_e32 v105, v105, v117
	v_add_f16_e32 v100, v115, v100
	v_mul_f16_e32 v118, 0x3b15, v82
	v_add_f16_e32 v102, v63, v102
	v_sub_f16_e32 v107, v107, v114
	v_mul_f16_e32 v121, 0x33a8, v88
	v_sub_f16_e32 v109, v109, v120
	v_add_f16_e32 v104, v116, v104
	v_add_f16_e32 v102, v105, v102
	v_add_f16_e32 v100, v62, v100
	v_mul_f16_e32 v119, 0x2fb7, v84
	v_sub_f16_e32 v111, v111, v121
	v_add_f16_e32 v106, v118, v106
	v_add_f16_e32 v102, v107, v102
	v_mul_f16_e32 v107, 0x3a95, v92
	v_add_f16_e32 v100, v104, v100
	v_mul_f16_e32 v104, 0x2fb7, v90
	v_mul_f16_e32 v117, 0xbbc4, v87
	v_add_f16_e32 v102, v109, v102
	v_sub_f16_e32 v107, v113, v107
	v_add_f16_e32 v108, v119, v108
	v_add_f16_e32 v100, v106, v100
	v_fmamk_f16 v106, v79, 0x3bf1, v104
	v_add_f16_e32 v102, v111, v102
	v_mul_f16_e32 v109, 0xbbc4, v94
	v_mul_f16_e32 v105, 0x388b, v91
	v_add_f16_e32 v110, v117, v110
	v_add_f16_e32 v100, v108, v100
	;; [unrolled: 1-line block ×4, first 2 shown]
	v_fmamk_f16 v107, v81, 0x33a8, v109
	v_mul_f16_e32 v108, 0xb5ac, v96
	v_add_f16_e32 v100, v110, v100
	v_add_f16_e32 v105, v105, v112
	v_mul_f16_e32 v110, 0xbbf1, v86
	v_add_f16_e32 v106, v107, v106
	v_fmamk_f16 v107, v83, 0xbb7b, v108
	v_mul_f16_e32 v111, 0x3b15, v97
	v_add_f16_e32 v100, v105, v100
	v_fmamk_f16 v105, v78, 0x2fb7, v110
	;; [unrolled: 3-line block ×15, first 2 shown]
	v_mul_f16_e32 v127, 0x2fb7, v99
	v_add_f16_e32 v114, v62, v114
	v_fma_f16 v128, 0xb5ac, v80, v126
	v_mul_f16_e64 v129, 0xb3a8, v93
	v_add_f16_e32 v107, v122, v107
	v_fmamk_f16 v122, v88, 0xbbf1, v127
	v_mul_f16_e64 v130, 0x3b15, v103
	v_add_f16_e64 v114, v128, v114
	v_fma_f16 v128, 0xbbc4, v82, v129
	v_mul_f16_e64 v131, 0x394e, v95
	v_add_f16_e32 v107, v122, v107
	v_fma_f16 v122, 0xb770, v92, v130
	v_add_f16_e32 v27, v27, v62
	v_add_f16_e64 v114, v128, v114
	v_fma_f16 v128, 0xb9fd, v84, v131
	v_mul_f16_e64 v134, 0x3770, v101
	v_add_f16_e32 v107, v122, v107
	v_mul_f16_e32 v122, 0x3bf1, v98
	v_add_f16_e32 v27, v28, v27
	v_add_f16_e64 v114, v128, v114
	v_fma_f16 v28, 0x3b15, v91, v134
	v_mul_f16_e32 v86, 0xb770, v86
	v_fma_f16 v133, 0x2fb7, v87, v122
	v_add_f16_e32 v21, v21, v27
	v_add_f16_e32 v27, v69, v63
	v_mul_f16_e32 v90, 0x3b15, v90
	v_mul_f16_e32 v94, 0x388b, v94
	v_add_f16_e64 v114, v133, v114
	v_add_f16_e32 v21, v22, v21
	v_add_f16_e32 v22, v68, v27
	v_mul_f16_e32 v27, 0xba95, v89
	v_fma_f16 v132, 0x3770, v79, v90
	v_add_f16_e32 v28, v28, v114
	v_fmamk_f16 v114, v78, 0x3b15, v86
	v_add_f16_e32 v21, v23, v21
	v_add_f16_e32 v22, v64, v22
	v_fmamk_f16 v23, v80, 0x388b, v27
	v_mul_f16_e32 v64, 0xbbf1, v93
	v_add_f16_e32 v89, v62, v114
	v_add_f16_e32 v21, v24, v21
	;; [unrolled: 1-line block ×3, first 2 shown]
	v_mul_f16_e32 v70, 0xbb7b, v95
	v_fmamk_f16 v24, v82, 0x2fb7, v64
	v_add_f16_e32 v23, v23, v89
	v_add_f16_e32 v21, v25, v21
	;; [unrolled: 1-line block ×3, first 2 shown]
	v_add_f16_e64 v128, v63, v132
	v_fma_f16 v132, 0x3a95, v81, v94
	v_add_f16_e32 v23, v24, v23
	v_fmamk_f16 v24, v84, 0xb5ac, v70
	v_add_f16_e32 v21, v26, v21
	v_add_f16_e32 v22, v66, v22
	v_mul_f16_e32 v26, 0xb94e, v98
	v_mul_f16_e32 v96, 0x2fb7, v96
	v_add_f16_e32 v23, v24, v23
	v_add_f16_e32 v19, v19, v21
	;; [unrolled: 1-line block ×3, first 2 shown]
	v_fmamk_f16 v22, v87, 0xb9fd, v26
	v_mul_f16_e32 v24, 0xb3a8, v101
	v_add_f16_e64 v128, v132, v128
	v_add_f16_e32 v19, v20, v19
	v_add_f16_e32 v20, v65, v21
	;; [unrolled: 1-line block ×3, first 2 shown]
	v_fmamk_f16 v22, v91, 0xbbc4, v24
	v_fma_f16 v132, 0x3bf1, v83, v96
	v_add_f16_e32 v17, v17, v19
	v_add_f16_e32 v19, v61, v20
	v_mul_f16_e32 v97, 0xb5ac, v97
	v_add_f16_e32 v20, v22, v21
	v_fma_f16 v21, v78, 0x2fb7, -v110
	v_fma_f16 v22, v80, 0xbbc4, -v112
	v_add_f16_e64 v128, v132, v128
	v_fma_f16 v132, 0x3b7b, v85, v97
	v_mul_f16_e32 v68, 0xb9fd, v99
	v_add_f16_e32 v21, v62, v21
	v_add_f16_e32 v17, v18, v17
	;; [unrolled: 1-line block ×3, first 2 shown]
	v_add_f16_e64 v69, v132, v128
	v_fmamk_f16 v93, v88, 0x394e, v68
	v_add_f16_e32 v21, v22, v21
	v_fma_f16 v22, v82, 0xb5ac, -v115
	v_mul_f16_e32 v66, 0xbbc4, v103
	v_add_f16_e32 v18, v41, v18
	v_add_f16_e32 v25, v93, v69
	v_fmac_f16_e32 v104, 0xbbf1, v79
	v_add_f16_e32 v21, v22, v21
	v_fma_f16 v22, v84, 0x3b15, -v117
	v_fmamk_f16 v67, v92, 0x33a8, v66
	v_fmac_f16_e32 v118, 0xba95, v79
	v_add_f16_e32 v18, v40, v18
	v_fmac_f16_e32 v90, 0xb770, v79
	v_add_f16_e32 v21, v22, v21
	v_fma_f16 v22, v87, 0x388b, -v119
	v_fma_f16 v40, v78, 0x3b15, -v86
	v_add_f16_e32 v23, v67, v25
	v_add_f16_e32 v19, v63, v104
	v_fmac_f16_e32 v109, 0xb3a8, v81
	v_add_f16_e32 v21, v22, v21
	v_fma_f16 v22, v91, 0xb9fd, -v121
	v_add_f16_e32 v25, v63, v118
	v_fmac_f16_e32 v120, 0xbb7b, v81
	v_fma_f16 v41, v80, 0xb5ac, -v126
	v_add_f16_e32 v43, v63, v90
	v_add_f16_e32 v21, v22, v21
	v_fma_f16 v22, v78, 0x388b, -v124
	v_fmac_f16_e32 v94, 0xba95, v81
	v_add_f16_e32 v40, v62, v40
	v_fma_f16 v27, v80, 0x388b, -v27
	v_add_f16_e32 v19, v109, v19
	v_add_f16_e32 v22, v62, v22
	v_fmac_f16_e32 v108, 0x3b7b, v83
	v_add_f16_e32 v25, v120, v25
	v_fmac_f16_e32 v123, 0xb3a8, v83
	v_add_f16_e32 v43, v94, v43
	v_add_f16_e32 v22, v41, v22
	v_fma_f16 v41, v82, 0xbbc4, -v129
	v_fmac_f16_e32 v96, 0xbbf1, v83
	v_add_f16_e32 v27, v27, v40
	v_fma_f16 v40, v82, 0x2fb7, -v64
	v_add_f16_e32 v19, v108, v19
	v_fmac_f16_e32 v111, 0x3770, v85
	v_add_f16_e32 v25, v123, v25
	v_fmac_f16_e32 v125, 0x394e, v85
	v_add_f16_e32 v22, v41, v22
	v_fma_f16 v41, v84, 0xb9fd, -v131
	v_add_f16_e32 v43, v96, v43
	v_fmac_f16_e32 v97, 0xbb7b, v85
	v_add_f16_e32 v27, v40, v27
	v_fma_f16 v40, v84, 0xb5ac, -v70
	v_add_f16_e32 v19, v111, v19
	v_fmac_f16_e32 v113, 0xba95, v88
	v_add_f16_e32 v25, v125, v25
	v_fmac_f16_e32 v127, 0x3bf1, v88
	v_add_f16_e32 v22, v41, v22
	v_fma_f16 v41, v87, 0x2fb7, -v122
	v_add_f16_e32 v43, v97, v43
	v_fmac_f16_e32 v68, 0xb94e, v88
	v_add_f16_e32 v27, v40, v27
	v_fma_f16 v26, v87, 0xb9fd, -v26
	v_add_f16_e32 v19, v113, v19
	v_fmac_f16_e32 v116, 0xb94e, v92
	v_add_f16_e32 v25, v127, v25
	v_fmac_f16_e64 v130, 0x3770, v92
	v_add_f16_e32 v22, v41, v22
	v_fma_f16 v40, v91, 0x3b15, -v134
	v_add_f16_e32 v41, v68, v43
	v_fmac_f16_e32 v66, 0xb3a8, v92
	v_add_f16_e32 v26, v26, v27
	v_fma_f16 v24, v91, 0xbbc4, -v24
	v_and_b32_e32 v27, 0xffff, v39
	v_add_f16_e32 v19, v116, v19
	v_add_f16_e64 v25, v130, v25
	v_add_f16_e32 v22, v40, v22
	v_add_f16_e32 v39, v66, v41
	;; [unrolled: 1-line block ×3, first 2 shown]
	v_lshl_add_u32 v26, v27, 2, v35
	v_pack_b32_f16 v20, v20, v23
	v_pack_b32_f16 v17, v17, v18
	;; [unrolled: 1-line block ×5, first 2 shown]
	v_perm_b32 v28, v73, v72, 0x5040100
	v_perm_b32 v40, v76, v32, 0x5040100
	;; [unrolled: 1-line block ×5, first 2 shown]
	v_pack_b32_f16 v22, v22, v25
	v_pack_b32_f16 v19, v21, v19
	;; [unrolled: 1-line block ×3, first 2 shown]
	ds_store_2addr_b32 v26, v17, v20 offset1:1
	ds_store_2addr_b32 v26, v23, v18 offset0:2 offset1:3
	ds_store_2addr_b32 v26, v27, v28 offset0:4 offset1:5
	;; [unrolled: 1-line block ×5, first 2 shown]
	ds_store_b32 v26, v21 offset:48
.LBB0_17:
	s_wait_alu 0xfffe
	s_or_b32 exec_lo, exec_lo, s1
	v_add_nc_u32_e32 v22, 0x200, v37
	global_wb scope:SCOPE_SE
	s_wait_dscnt 0x0
	s_barrier_signal -1
	s_barrier_wait -1
	global_inv scope:SCOPE_SE
	ds_load_2addr_b32 v[17:18], v37 offset1:117
	ds_load_2addr_b32 v[19:20], v22 offset0:106 offset1:223
	ds_load_b32 v21, v37 offset:1872
	s_and_saveexec_b32 s1, s0
	s_cbranch_execz .LBB0_19
; %bb.18:
	v_add_nc_u32_e32 v23, 0x600, v37
	ds_load_b32 v72, v37 offset:260
	ds_load_2addr_b32 v[31:32], v22 offset0:54 offset1:171
	ds_load_2addr_b32 v[29:30], v23 offset0:32 offset1:149
	s_wait_dscnt 0x2
	v_lshrrev_b32_e32 v73, 16, v72
	s_wait_dscnt 0x1
	v_lshrrev_b32_e32 v77, 16, v31
	v_lshrrev_b32_e32 v76, 16, v32
	s_wait_dscnt 0x0
	v_lshrrev_b32_e32 v75, 16, v29
	v_lshrrev_b32_e32 v74, 16, v30
.LBB0_19:
	s_wait_alu 0xfffe
	s_or_b32 exec_lo, exec_lo, s1
	s_wait_dscnt 0x1
	v_lshrrev_b32_e32 v22, 16, v19
	v_lshrrev_b32_e32 v23, 16, v20
	;; [unrolled: 1-line block ×3, first 2 shown]
	s_wait_dscnt 0x0
	v_lshrrev_b32_e32 v25, 16, v21
	v_mul_f16_e32 v28, v51, v18
	v_mul_f16_e32 v26, v52, v22
	v_mul_f16_e32 v27, v50, v23
	v_mul_f16_e32 v39, v52, v19
	v_mul_f16_e32 v40, v51, v24
	v_fma_f16 v24, v4, v24, -v28
	v_fmac_f16_e32 v26, v5, v19
	v_fmac_f16_e32 v27, v6, v20
	v_mul_f16_e32 v19, v49, v21
	v_mul_f16_e32 v20, v50, v20
	v_fmac_f16_e32 v40, v4, v18
	v_fma_f16 v5, v5, v22, -v39
	v_add_f16_e32 v4, v26, v27
	v_fma_f16 v18, v7, v25, -v19
	v_mul_f16_e32 v19, v49, v25
	v_add_f16_e32 v22, v17, v40
	v_fma_f16 v6, v6, v23, -v20
	v_fma_f16 v4, -0.5, v4, v17
	v_sub_f16_e32 v25, v24, v18
	v_fmac_f16_e32 v19, v7, v21
	v_add_f16_e32 v7, v22, v26
	v_sub_f16_e32 v22, v5, v6
	v_sub_f16_e32 v23, v40, v26
	v_fmamk_f16 v21, v25, 0xbb9c, v4
	v_sub_f16_e32 v28, v19, v27
	v_fmac_f16_e32 v4, 0x3b9c, v25
	v_add_f16_e32 v39, v40, v19
	v_lshrrev_b32_e32 v20, 16, v17
	v_fmac_f16_e32 v21, 0xb8b4, v22
	v_add_f16_e32 v23, v23, v28
	v_fmac_f16_e32 v4, 0x38b4, v22
	v_fmac_f16_e32 v17, -0.5, v39
	v_add_f16_e32 v7, v7, v27
	v_add_f16_e32 v28, v5, v6
	v_fmac_f16_e32 v21, 0x34f2, v23
	v_fmac_f16_e32 v4, 0x34f2, v23
	v_fmamk_f16 v23, v22, 0x3b9c, v17
	v_sub_f16_e32 v39, v26, v40
	v_sub_f16_e32 v41, v27, v19
	v_fmac_f16_e32 v17, 0xbb9c, v22
	v_add_f16_e32 v7, v7, v19
	v_add_f16_e32 v22, v20, v24
	v_sub_f16_e32 v19, v40, v19
	v_add_f16_e32 v40, v24, v18
	v_fma_f16 v28, -0.5, v28, v20
	v_fmac_f16_e32 v23, 0xb8b4, v25
	v_add_f16_e32 v39, v39, v41
	v_fmac_f16_e32 v17, 0x38b4, v25
	v_add_f16_e32 v22, v22, v5
	v_sub_f16_e32 v26, v26, v27
	v_fmac_f16_e32 v20, -0.5, v40
	v_fmamk_f16 v25, v19, 0x3b9c, v28
	v_fmac_f16_e32 v23, 0x34f2, v39
	v_fmac_f16_e32 v17, 0x34f2, v39
	v_sub_f16_e32 v27, v24, v5
	v_sub_f16_e32 v39, v18, v6
	v_add_f16_e32 v22, v22, v6
	v_fmamk_f16 v40, v26, 0xbb9c, v20
	v_sub_f16_e32 v5, v5, v24
	v_sub_f16_e32 v6, v6, v18
	v_fmac_f16_e32 v20, 0x3b9c, v26
	v_fmac_f16_e32 v28, 0xbb9c, v19
	;; [unrolled: 1-line block ×3, first 2 shown]
	v_add_f16_e32 v24, v27, v39
	v_fmac_f16_e32 v40, 0x38b4, v19
	v_add_f16_e32 v5, v5, v6
	v_fmac_f16_e32 v20, 0xb8b4, v19
	v_fmac_f16_e32 v28, 0xb8b4, v26
	v_add_f16_e32 v6, v22, v18
	v_fmac_f16_e32 v25, 0x34f2, v24
	v_fmac_f16_e32 v40, 0x34f2, v5
	;; [unrolled: 1-line block ×4, first 2 shown]
	v_pack_b32_f16 v5, v7, v6
	v_pack_b32_f16 v6, v21, v25
	;; [unrolled: 1-line block ×5, first 2 shown]
	global_wb scope:SCOPE_SE
	s_barrier_signal -1
	s_barrier_wait -1
	global_inv scope:SCOPE_SE
	ds_store_2addr_b32 v48, v5, v6 offset1:13
	ds_store_2addr_b32 v48, v7, v17 offset0:26 offset1:39
	ds_store_b32 v48, v4 offset:208
	s_and_saveexec_b32 s1, s0
	s_cbranch_execz .LBB0_21
; %bb.20:
	v_mul_f16_e32 v4, v44, v31
	v_mul_f16_e32 v6, v45, v30
	;; [unrolled: 1-line block ×7, first 2 shown]
	v_fma_f16 v4, v0, v77, -v4
	v_mul_f16_e32 v18, v46, v75
	v_fma_f16 v6, v3, v74, -v6
	v_fmac_f16_e32 v19, v0, v31
	v_fmac_f16_e32 v20, v3, v30
	;; [unrolled: 1-line block ×4, first 2 shown]
	v_add_f16_e32 v21, v6, v4
	v_fma_f16 v0, v1, v76, -v5
	v_fma_f16 v1, v2, v75, -v7
	v_add_f16_e32 v5, v20, v19
	v_sub_f16_e32 v2, v17, v18
	v_fma_f16 v3, -0.5, v21, v73
	v_sub_f16_e32 v7, v0, v4
	v_sub_f16_e32 v23, v0, v1
	v_fma_f16 v5, -0.5, v5, v72
	v_sub_f16_e32 v21, v1, v6
	v_fmamk_f16 v22, v2, 0x3b9c, v3
	v_sub_f16_e32 v24, v19, v20
	v_sub_f16_e32 v25, v17, v19
	;; [unrolled: 1-line block ×4, first 2 shown]
	v_fmamk_f16 v28, v23, 0xbb9c, v5
	v_fmac_f16_e32 v3, 0xbb9c, v2
	v_fmac_f16_e32 v5, 0x3b9c, v23
	v_add_f16_e32 v7, v21, v7
	v_fmac_f16_e32 v22, 0xb8b4, v24
	v_add_f16_e32 v21, v26, v25
	;; [unrolled: 2-line block ×3, first 2 shown]
	v_fmac_f16_e32 v3, 0x38b4, v24
	v_fmac_f16_e32 v5, 0xb8b4, v27
	v_sub_f16_e32 v26, v4, v0
	v_sub_f16_e32 v29, v6, v1
	v_add_f16_e32 v30, v18, v17
	v_fmac_f16_e32 v22, 0x34f2, v7
	v_fmac_f16_e32 v28, 0x34f2, v21
	v_fma_f16 v25, -0.5, v25, v73
	v_fmac_f16_e32 v3, 0x34f2, v7
	v_fmac_f16_e32 v5, 0x34f2, v21
	v_add_f16_e32 v7, v29, v26
	v_fma_f16 v21, -0.5, v30, v72
	v_add_f16_e32 v4, v4, v73
	v_sub_f16_e32 v26, v19, v17
	v_add_f16_e32 v19, v72, v19
	v_fmamk_f16 v31, v24, 0x3b9c, v25
	v_sub_f16_e32 v29, v20, v18
	v_fmamk_f16 v30, v27, 0xbb9c, v21
	v_add_f16_e32 v0, v0, v4
	v_add_f16_e32 v17, v17, v19
	v_fmac_f16_e32 v25, 0xbb9c, v24
	v_fmac_f16_e32 v21, 0x3b9c, v27
	;; [unrolled: 1-line block ×3, first 2 shown]
	v_add_f16_e32 v4, v29, v26
	v_fmac_f16_e32 v30, 0xb8b4, v23
	v_add_f16_e32 v0, v1, v0
	v_mul_u32_u24_e32 v1, 0x41, v42
	v_add_f16_e32 v17, v18, v17
	v_fmac_f16_e32 v25, 0xb8b4, v2
	v_fmac_f16_e32 v21, 0x38b4, v23
	;; [unrolled: 1-line block ×3, first 2 shown]
	v_add_f16_e32 v0, v6, v0
	v_add_nc_u32_e32 v1, v1, v38
	v_add_f16_e32 v2, v20, v17
	v_fmac_f16_e32 v30, 0x34f2, v4
	v_fmac_f16_e32 v25, 0x34f2, v7
	;; [unrolled: 1-line block ×3, first 2 shown]
	v_lshl_add_u32 v1, v1, 2, v35
	v_pack_b32_f16 v0, v2, v0
	v_pack_b32_f16 v2, v30, v31
	;; [unrolled: 1-line block ×5, first 2 shown]
	ds_store_2addr_b32 v1, v0, v2 offset1:13
	ds_store_2addr_b32 v1, v3, v4 offset0:26 offset1:39
	ds_store_b32 v1, v5 offset:208
.LBB0_21:
	s_wait_alu 0xfffe
	s_or_b32 exec_lo, exec_lo, s1
	global_wb scope:SCOPE_SE
	s_wait_dscnt 0x0
	s_barrier_signal -1
	s_barrier_wait -1
	global_inv scope:SCOPE_SE
	ds_load_2addr_b32 v[0:1], v37 offset0:65 offset1:130
	v_add_nc_u32_e32 v2, 0x200, v37
	v_add_nc_u32_e32 v4, 0x400, v37
	;; [unrolled: 1-line block ×3, first 2 shown]
	ds_load_b32 v17, v37
	ds_load_2addr_b32 v[2:3], v2 offset0:67 offset1:132
	ds_load_2addr_b32 v[4:5], v4 offset0:69 offset1:134
	;; [unrolled: 1-line block ×3, first 2 shown]
	s_wait_dscnt 0x4
	v_lshrrev_b32_e32 v19, 16, v0
	v_lshrrev_b32_e32 v20, 16, v1
	v_mul_f16_e32 v21, v60, v0
	v_mul_f16_e32 v22, v59, v1
	s_wait_dscnt 0x2
	v_lshrrev_b32_e32 v23, 16, v2
	v_mul_f16_e32 v29, v60, v19
	v_lshrrev_b32_e32 v24, 16, v3
	s_wait_dscnt 0x1
	v_lshrrev_b32_e32 v25, 16, v4
	v_fma_f16 v19, v8, v19, -v21
	v_mul_f16_e32 v21, v59, v20
	v_fmac_f16_e32 v29, v8, v0
	v_mul_f16_e32 v0, v58, v23
	v_lshrrev_b32_e32 v26, 16, v5
	s_wait_dscnt 0x0
	v_lshrrev_b32_e32 v27, 16, v6
	v_lshrrev_b32_e32 v28, 16, v7
	v_fma_f16 v20, v9, v20, -v22
	v_mul_f16_e32 v22, v58, v2
	v_mul_f16_e32 v30, v57, v3
	v_fmac_f16_e32 v21, v9, v1
	v_mul_f16_e32 v8, v57, v24
	v_mul_f16_e32 v9, v56, v25
	v_fmac_f16_e32 v0, v10, v2
	v_mul_f16_e32 v2, v56, v4
	v_fma_f16 v1, v10, v23, -v22
	v_mul_f16_e32 v10, v53, v26
	v_fmac_f16_e32 v8, v11, v3
	v_fma_f16 v3, v11, v24, -v30
	v_fmac_f16_e32 v9, v12, v4
	v_fma_f16 v2, v12, v25, -v2
	v_mul_f16_e32 v4, v55, v28
	v_mul_f16_e32 v11, v55, v7
	;; [unrolled: 1-line block ×4, first 2 shown]
	v_fmac_f16_e32 v10, v13, v5
	v_mul_f16_e32 v5, v53, v5
	v_fmac_f16_e32 v4, v15, v7
	v_fma_f16 v7, v15, v28, -v11
	v_fmac_f16_e32 v12, v14, v6
	v_fma_f16 v6, v14, v27, -v22
	v_fma_f16 v5, v13, v26, -v5
	v_add_f16_e32 v11, v29, v4
	v_add_f16_e32 v13, v19, v7
	v_add_f16_e32 v14, v21, v12
	v_add_f16_e32 v15, v20, v6
	v_sub_f16_e32 v4, v29, v4
	v_add_f16_e32 v22, v0, v10
	v_sub_f16_e32 v12, v21, v12
	v_add_f16_e32 v21, v1, v5
	v_add_f16_e32 v31, v14, v11
	;; [unrolled: 1-line block ×3, first 2 shown]
	v_sub_f16_e32 v7, v19, v7
	v_mul_f16_e32 v19, 0x3924, v4
	v_sub_f16_e32 v24, v3, v2
	v_add_f16_e32 v38, v22, v31
	v_add_f16_e32 v39, v21, v32
	v_sub_f16_e32 v0, v0, v10
	v_fmac_f16_e32 v19, 0x3be1, v12
	v_sub_f16_e32 v23, v8, v9
	v_add_f16_e32 v25, v8, v9
	v_add_f16_e32 v26, v3, v2
	v_mul_f16_e32 v27, 0xb924, v24
	v_add_f16_e32 v8, v8, v38
	v_add_f16_e32 v3, v3, v39
	v_lshrrev_b32_e32 v18, 16, v17
	v_sub_f16_e32 v1, v1, v5
	v_fmac_f16_e32 v19, 0x3aee, v0
	v_fmamk_f16 v28, v25, 0x3a21, v17
	v_fmac_f16_e32 v27, 0x3be1, v7
	v_add_f16_e32 v8, v9, v8
	v_add_f16_e32 v2, v2, v3
	v_sub_f16_e32 v6, v20, v6
	v_mul_f16_e32 v20, 0x3924, v7
	v_fmamk_f16 v5, v11, 0x3a21, v17
	v_fmamk_f16 v10, v13, 0x3a21, v18
	v_fmac_f16_e32 v19, 0x3579, v23
	v_mul_f16_e32 v29, 0xb924, v23
	v_fmamk_f16 v30, v26, 0x3a21, v18
	v_fmac_f16_e32 v28, 0x318f, v11
	v_fmac_f16_e32 v27, 0xbaee, v1
	v_add_f16_e32 v35, v23, v4
	v_add_f16_e32 v37, v24, v7
	;; [unrolled: 1-line block ×4, first 2 shown]
	v_mul_f16_e32 v9, 0x3be1, v23
	v_mul_f16_e32 v23, 0x3be1, v24
	v_add_f16_e32 v8, v8, v17
	v_add_f16_e32 v2, v2, v18
	v_fmac_f16_e32 v17, 0x3a21, v14
	v_fmac_f16_e32 v18, 0x3a21, v15
	v_fmac_f16_e32 v20, 0x3be1, v6
	v_fmac_f16_e32 v28, -0.5, v22
	v_fmac_f16_e32 v27, 0x3579, v6
	v_sub_f16_e32 v37, v37, v6
	v_fma_f16 v9, v12, 0xb924, -v9
	v_fma_f16 v6, v6, 0xb924, -v23
	v_fmac_f16_e32 v17, 0x318f, v25
	v_fmac_f16_e32 v18, 0x318f, v26
	;; [unrolled: 1-line block ×7, first 2 shown]
	v_add_f16_e32 v3, v25, v31
	v_add_f16_e32 v14, v26, v32
	v_fmac_f16_e32 v9, 0x3aee, v0
	v_fmac_f16_e32 v6, 0x3aee, v1
	v_fmac_f16_e32 v17, -0.5, v22
	v_fmac_f16_e32 v18, -0.5, v21
	v_fmac_f16_e32 v20, 0x3aee, v1
	v_fmac_f16_e32 v5, -0.5, v22
	v_fmac_f16_e32 v10, -0.5, v21
	v_fmac_f16_e32 v29, 0xbaee, v0
	v_fmac_f16_e32 v30, -0.5, v21
	v_sub_f16_e32 v35, v35, v12
	v_fmac_f16_e32 v39, -0.5, v3
	v_fmac_f16_e32 v40, -0.5, v14
	v_fmac_f16_e32 v9, 0x3579, v4
	v_fmac_f16_e32 v6, 0x3579, v7
	;; [unrolled: 1-line block ×9, first 2 shown]
	v_mul_f16_e32 v38, 0x3aee, v35
	v_mul_f16_e32 v0, 0x3aee, v37
	v_fmac_f16_e32 v39, 0xbaee, v37
	v_fmac_f16_e32 v40, 0x3aee, v35
	v_sub_f16_e32 v1, v17, v6
	v_add_f16_e32 v3, v9, v18
	v_sub_f16_e32 v5, v5, v20
	v_add_f16_e32 v10, v19, v10
	;; [unrolled: 2-line block ×3, first 2 shown]
	v_fma_f16 v0, 2.0, v0, v39
	v_fma_f16 v11, -2.0, v38, v40
	v_fma_f16 v6, 2.0, v6, v1
	v_fma_f16 v9, -2.0, v9, v3
	;; [unrolled: 2-line block ×4, first 2 shown]
	v_pack_b32_f16 v8, v8, v2
	v_pack_b32_f16 v1, v1, v3
	v_add_nc_u32_e32 v4, 0x200, v36
	v_add_nc_u32_e32 v3, 0x400, v36
	;; [unrolled: 1-line block ×3, first 2 shown]
	v_pack_b32_f16 v5, v5, v10
	v_pack_b32_f16 v10, v28, v30
	v_pack_b32_f16 v12, v39, v40
	v_pack_b32_f16 v6, v6, v9
	v_pack_b32_f16 v0, v0, v11
	v_pack_b32_f16 v7, v27, v7
	v_pack_b32_f16 v9, v20, v19
	ds_store_b32 v36, v8
	ds_store_2addr_b32 v36, v5, v10 offset0:65 offset1:130
	ds_store_2addr_b32 v4, v12, v1 offset0:67 offset1:132
	;; [unrolled: 1-line block ×4, first 2 shown]
	global_wb scope:SCOPE_SE
	s_wait_dscnt 0x0
	s_barrier_signal -1
	s_barrier_wait -1
	global_inv scope:SCOPE_SE
	s_and_b32 exec_lo, exec_lo, vcc_lo
	s_cbranch_execz .LBB0_23
; %bb.22:
	s_clause 0x6
	global_load_b32 v0, v33, s[20:21]
	global_load_b32 v1, v33, s[20:21] offset:180
	global_load_b32 v8, v33, s[20:21] offset:360
	;; [unrolled: 1-line block ×6, first 2 shown]
	ds_load_b32 v26, v36
	ds_load_2addr_b32 v[13:14], v36 offset0:45 offset1:90
	ds_load_2addr_b32 v[17:18], v36 offset0:135 offset1:180
	v_mad_co_u64_u32 v[11:12], null, s6, v16, 0
	v_mad_co_u64_u32 v[19:20], null, s4, v34, 0
	ds_load_2addr_b32 v[21:22], v4 offset0:97 offset1:142
	s_mov_b32 s24, 0x1c01c01c
	s_mov_b32 s25, 0x3f5c01c0
	s_mul_u64 s[22:23], s[4:5], 0xb4
	s_clause 0x3
	global_load_b32 v4, v33, s[20:21] offset:1260
	global_load_b32 v5, v33, s[20:21] offset:1440
	;; [unrolled: 1-line block ×4, first 2 shown]
	s_wait_dscnt 0x2
	v_mad_co_u64_u32 v[23:24], null, s7, v16, v[12:13]
	v_mov_b32_e32 v15, v20
	v_lshrrev_b32_e32 v24, 16, v13
	v_lshrrev_b32_e32 v27, 16, v14
	s_wait_dscnt 0x1
	v_lshrrev_b32_e32 v28, 16, v17
	v_lshrrev_b32_e32 v29, 16, v18
	s_wait_dscnt 0x0
	v_lshrrev_b32_e32 v30, 16, v21
	v_mov_b32_e32 v12, v23
	v_mad_co_u64_u32 v[15:16], null, s5, v34, v[15:16]
	v_lshrrev_b32_e32 v16, 16, v26
	v_lshrrev_b32_e32 v41, 16, v22
	s_delay_alu instid0(VALU_DEP_4) | instskip(NEXT) | instid1(VALU_DEP_4)
	v_lshlrev_b64_e32 v[11:12], 2, v[11:12]
	v_mov_b32_e32 v20, v15
	s_delay_alu instid0(VALU_DEP_1)
	v_lshlrev_b64_e32 v[19:20], 2, v[19:20]
	s_wait_loadcnt 0xa
	v_lshrrev_b32_e32 v23, 16, v0
	s_wait_loadcnt 0x9
	v_lshrrev_b32_e32 v15, 16, v1
	;; [unrolled: 2-line block ×5, first 2 shown]
	v_mul_f16_e32 v31, v16, v23
	v_mul_f16_e32 v23, v26, v23
	;; [unrolled: 1-line block ×4, first 2 shown]
	s_wait_loadcnt 0x5
	v_lshrrev_b32_e32 v36, 16, v25
	v_fmac_f16_e32 v31, v26, v0
	v_mul_f16_e32 v26, v24, v15
	v_fma_f16 v0, v0, v16, -v23
	v_mul_f16_e32 v23, v14, v32
	v_mul_f16_e32 v32, v17, v34
	v_cvt_f32_f16_e32 v15, v31
	v_fmac_f16_e32 v26, v13, v1
	v_cvt_f32_f16_e32 v0, v0
	v_fma_f16 v13, v1, v24, -v37
	v_mul_f16_e32 v31, v28, v34
	v_cvt_f64_f32_e32 v[15:16], v15
	v_cvt_f32_f16_e32 v24, v26
	v_cvt_f64_f32_e32 v[0:1], v0
	v_mul_f16_e32 v34, v29, v35
	v_mul_f16_e32 v26, v18, v35
	v_fmac_f16_e32 v38, v14, v8
	v_cvt_f32_f16_e32 v35, v13
	v_cvt_f64_f32_e32 v[13:14], v24
	v_fma_f16 v8, v8, v27, -v23
	v_fmac_f16_e32 v31, v17, v9
	v_cvt_f32_f16_e32 v27, v38
	v_cvt_f64_f32_e32 v[23:24], v35
	v_fma_f16 v28, v9, v28, -v32
	v_cvt_f32_f16_e32 v17, v8
	v_mul_f16_e32 v37, v30, v36
	v_cvt_f64_f32_e32 v[8:9], v27
	v_mul_f16_e32 v35, v21, v36
	v_fmac_f16_e32 v34, v18, v10
	v_cvt_f32_f16_e32 v27, v31
	v_cvt_f64_f32_e32 v[17:18], v17
	v_fma_f16 v10, v10, v29, -v26
	v_fmac_f16_e32 v37, v21, v25
	v_cvt_f32_f16_e32 v21, v28
	v_fma_f16 v29, v25, v30, -v35
	v_cvt_f64_f32_e32 v[25:26], v27
	v_cvt_f32_f16_e32 v30, v34
	v_cvt_f32_f16_e32 v10, v10
	v_cvt_f64_f32_e32 v[27:28], v21
	v_cvt_f32_f16_e32 v21, v37
	v_cvt_f32_f16_e32 v36, v29
	v_cvt_f64_f32_e32 v[29:30], v30
	v_cvt_f64_f32_e32 v[31:32], v10
	s_wait_loadcnt 0x4
	v_lshrrev_b32_e32 v38, 16, v40
	v_cvt_f64_f32_e32 v[34:35], v21
	v_add_co_u32 v21, vcc_lo, s8, v11
	v_add_co_ci_u32_e32 v12, vcc_lo, s9, v12, vcc_lo
	v_mul_f64_e32 v[15:16], s[24:25], v[15:16]
	s_delay_alu instid0(VALU_DEP_3)
	v_add_co_u32 v19, vcc_lo, v21, v19
	v_mul_f64_e32 v[10:11], s[24:25], v[0:1]
	s_wait_alu 0xfffd
	v_add_co_ci_u32_e32 v20, vcc_lo, v12, v20, vcc_lo
	v_mul_f16_e32 v0, v41, v38
	v_mul_f64_e32 v[12:13], s[24:25], v[13:14]
	v_mul_f16_e32 v1, v22, v38
	v_add_co_u32 v38, vcc_lo, v19, s22
	v_mul_f64_e32 v[23:24], s[24:25], v[23:24]
	s_wait_alu 0xfffd
	v_add_co_ci_u32_e32 v39, vcc_lo, s23, v20, vcc_lo
	s_delay_alu instid0(VALU_DEP_3)
	v_add_co_u32 v21, vcc_lo, v38, s22
	v_mul_f64_e32 v[8:9], s[24:25], v[8:9]
	v_fmac_f16_e32 v0, v22, v40
	s_wait_alu 0xfffd
	v_add_co_ci_u32_e32 v22, vcc_lo, s23, v39, vcc_lo
	v_mul_f64_e32 v[17:18], s[24:25], v[17:18]
	v_fma_f16 v1, v40, v41, -v1
	v_add_co_u32 v40, vcc_lo, v21, s22
	v_mul_f64_e32 v[25:26], s[24:25], v[25:26]
	s_wait_alu 0xfffd
	v_add_co_ci_u32_e32 v41, vcc_lo, s23, v22, vcc_lo
	v_mul_f64_e32 v[27:28], s[24:25], v[27:28]
	v_cvt_f64_f32_e32 v[36:37], v36
	v_cvt_f32_f16_e32 v0, v0
	v_mul_f64_e32 v[29:30], s[24:25], v[29:30]
	v_mul_f64_e32 v[31:32], s[24:25], v[31:32]
	v_cvt_f32_f16_e32 v1, v1
	v_mul_f64_e32 v[34:35], s[24:25], v[34:35]
	v_cvt_f64_f32_e32 v[42:43], v0
	s_delay_alu instid0(VALU_DEP_3) | instskip(SKIP_4) | instid1(VALU_DEP_4)
	v_cvt_f64_f32_e32 v[44:45], v1
	v_and_or_b32 v14, 0x1ff, v16, v15
	v_lshrrev_b32_e32 v15, 8, v16
	v_and_or_b32 v10, 0x1ff, v11, v10
	v_bfe_u32 v46, v11, 20, 11
	v_cmp_ne_u32_e32 vcc_lo, 0, v14
	v_and_or_b32 v12, 0x1ff, v13, v12
	v_lshrrev_b32_e32 v47, 8, v13
	v_bfe_u32 v48, v13, 20, 11
	s_wait_alu 0xfffd
	v_cndmask_b32_e64 v14, 0, 1, vcc_lo
	v_cmp_ne_u32_e32 vcc_lo, 0, v10
	v_and_or_b32 v23, 0x1ff, v24, v23
	v_bfe_u32 v50, v24, 20, 11
	v_sub_nc_u32_e32 v66, 0x3f1, v46
	v_and_or_b32 v14, 0xffe, v15, v14
	s_wait_alu 0xfffd
	v_cndmask_b32_e64 v10, 0, 1, vcc_lo
	v_cmp_ne_u32_e32 vcc_lo, 0, v12
	v_and_or_b32 v8, 0x1ff, v9, v8
	v_lshrrev_b32_e32 v49, 8, v24
	v_and_or_b32 v17, 0x1ff, v18, v17
	v_bfe_u32 v52, v9, 20, 11
	s_wait_alu 0xfffd
	v_cndmask_b32_e64 v12, 0, 1, vcc_lo
	v_cmp_ne_u32_e32 vcc_lo, 0, v23
	v_and_or_b32 v25, 0x1ff, v26, v25
	v_bfe_u32 v54, v18, 20, 11
	v_add_nc_u32_e32 v46, 0xfffffc10, v46
	v_and_or_b32 v27, 0x1ff, v28, v27
	s_wait_alu 0xfffd
	v_cndmask_b32_e64 v23, 0, 1, vcc_lo
	v_cmp_ne_u32_e32 vcc_lo, 0, v8
	v_and_or_b32 v29, 0x1ff, v30, v29
	v_and_or_b32 v31, 0x1ff, v32, v31
	v_mul_f64_e32 v[0:1], s[24:25], v[36:37]
	v_and_or_b32 v34, 0x1ff, v35, v34
	s_wait_alu 0xfffd
	v_cndmask_b32_e64 v8, 0, 1, vcc_lo
	v_cmp_ne_u32_e32 vcc_lo, 0, v17
	v_bfe_u32 v36, v16, 20, 11
	v_lshrrev_b32_e32 v37, 8, v11
	v_sub_nc_u32_e32 v67, 0x3f1, v48
	v_sub_nc_u32_e32 v68, 0x3f1, v50
	s_wait_alu 0xfffd
	v_cndmask_b32_e64 v17, 0, 1, vcc_lo
	v_cmp_ne_u32_e32 vcc_lo, 0, v25
	v_sub_nc_u32_e32 v65, 0x3f1, v36
	v_add_nc_u32_e32 v36, 0xfffffc10, v36
	v_and_or_b32 v10, 0xffe, v37, v10
	v_med3_i32 v37, v66, 0, 13
	s_wait_alu 0xfffd
	v_cndmask_b32_e64 v25, 0, 1, vcc_lo
	v_cmp_ne_u32_e32 vcc_lo, 0, v27
	v_med3_i32 v15, v65, 0, 13
	v_and_or_b32 v12, 0xffe, v47, v12
	v_or_b32_e32 v65, 0x1000, v14
	v_lshl_or_b32 v66, v36, 12, v14
	s_wait_alu 0xfffd
	v_cndmask_b32_e64 v27, 0, 1, vcc_lo
	v_cmp_ne_u32_e32 vcc_lo, 0, v29
	v_lshrrev_b32_e32 v51, 8, v9
	v_lshrrev_b32_e32 v53, 8, v18
	v_bfe_u32 v56, v26, 20, 11
	v_bfe_u32 v58, v28, 20, 11
	s_wait_alu 0xfffd
	v_cndmask_b32_e64 v29, 0, 1, vcc_lo
	v_cmp_ne_u32_e32 vcc_lo, 0, v31
	v_add_nc_u32_e32 v48, 0xfffffc10, v48
	v_sub_nc_u32_e32 v69, 0x3f1, v52
	v_sub_nc_u32_e32 v70, 0x3f1, v54
	v_med3_i32 v47, v67, 0, 13
	s_wait_alu 0xfffd
	v_cndmask_b32_e64 v31, 0, 1, vcc_lo
	v_cmp_ne_u32_e32 vcc_lo, 0, v34
	v_and_or_b32 v23, 0xffe, v49, v23
	v_med3_i32 v49, v68, 0, 13
	v_or_b32_e32 v67, 0x1000, v10
	v_lshl_or_b32 v68, v46, 12, v10
	s_wait_alu 0xfffd
	v_cndmask_b32_e64 v34, 0, 1, vcc_lo
	v_cmp_ne_u32_e32 vcc_lo, 0, v14
	v_lshrrev_b32_e32 v55, 8, v26
	v_lshrrev_b32_e32 v57, 8, v28
	v_bfe_u32 v60, v30, 20, 11
	v_bfe_u32 v62, v32, 20, 11
	s_wait_alu 0xfffd
	v_cndmask_b32_e64 v14, 0, 1, vcc_lo
	v_cmp_ne_u32_e32 vcc_lo, 0, v10
	v_add_nc_u32_e32 v50, 0xfffffc10, v50
	v_sub_nc_u32_e32 v71, 0x3f1, v56
	v_sub_nc_u32_e32 v72, 0x3f1, v58
	v_and_or_b32 v8, 0xffe, v51, v8
	s_wait_alu 0xfffd
	v_cndmask_b32_e64 v10, 0, 1, vcc_lo
	v_cmp_ne_u32_e32 vcc_lo, 0, v12
	v_med3_i32 v51, v69, 0, 13
	v_and_or_b32 v17, 0xffe, v53, v17
	v_med3_i32 v53, v70, 0, 13
	v_or_b32_e32 v69, 0x1000, v12
	v_lshl_or_b32 v70, v48, 12, v12
	s_wait_alu 0xfffd
	v_cndmask_b32_e64 v12, 0, 1, vcc_lo
	v_cmp_ne_u32_e32 vcc_lo, 0, v23
	v_lshrrev_b32_e32 v59, 8, v30
	v_lshrrev_b32_e32 v61, 8, v32
	v_bfe_u32 v64, v35, 20, 11
	v_add_nc_u32_e32 v52, 0xfffffc10, v52
	v_sub_nc_u32_e32 v73, 0x3f1, v60
	v_sub_nc_u32_e32 v74, 0x3f1, v62
	v_and_or_b32 v25, 0xffe, v55, v25
	v_med3_i32 v55, v71, 0, 13
	v_and_or_b32 v27, 0xffe, v57, v27
	v_med3_i32 v57, v72, 0, 13
	v_or_b32_e32 v71, 0x1000, v23
	v_lshl_or_b32 v72, v50, 12, v23
	s_wait_alu 0xfffd
	v_cndmask_b32_e64 v23, 0, 1, vcc_lo
	v_cmp_ne_u32_e32 vcc_lo, 0, v8
	v_lshrrev_b32_e32 v63, 8, v35
	v_add_nc_u32_e32 v54, 0xfffffc10, v54
	v_sub_nc_u32_e32 v75, 0x3f1, v64
	v_and_or_b32 v29, 0xffe, v59, v29
	v_med3_i32 v59, v73, 0, 13
	v_and_or_b32 v31, 0xffe, v61, v31
	v_med3_i32 v61, v74, 0, 13
	v_or_b32_e32 v73, 0x1000, v8
	v_lshl_or_b32 v74, v52, 12, v8
	s_wait_alu 0xfffd
	v_cndmask_b32_e64 v8, 0, 1, vcc_lo
	v_cmp_ne_u32_e32 vcc_lo, 0, v17
	v_add_nc_u32_e32 v56, 0xfffffc10, v56
	v_and_or_b32 v34, 0xffe, v63, v34
	v_med3_i32 v63, v75, 0, 13
	v_or_b32_e32 v75, 0x1000, v17
	v_lshl_or_b32 v76, v54, 12, v17
	s_wait_alu 0xfffd
	v_cndmask_b32_e64 v17, 0, 1, vcc_lo
	v_cmp_ne_u32_e32 vcc_lo, 0, v25
	v_add_nc_u32_e32 v58, 0xfffffc10, v58
	v_or_b32_e32 v77, 0x1000, v25
	v_lshl_or_b32 v78, v56, 12, v25
	v_add_nc_u32_e32 v60, 0xfffffc10, v60
	s_wait_alu 0xfffd
	v_cndmask_b32_e64 v25, 0, 1, vcc_lo
	v_cmp_ne_u32_e32 vcc_lo, 0, v27
	v_or_b32_e32 v79, 0x1000, v27
	v_lshl_or_b32 v80, v58, 12, v27
	v_lshrrev_b32_e32 v87, v15, v65
	v_add_nc_u32_e32 v62, 0xfffffc10, v62
	s_wait_alu 0xfffd
	v_cndmask_b32_e64 v27, 0, 1, vcc_lo
	v_cmp_ne_u32_e32 vcc_lo, 0, v29
	v_or_b32_e32 v81, 0x1000, v29
	v_lshl_or_b32 v82, v60, 12, v29
	v_lshrrev_b32_e32 v88, v37, v67
	v_lshl_or_b32 v10, v10, 9, 0x7c00
	s_wait_alu 0xfffd
	v_cndmask_b32_e64 v29, 0, 1, vcc_lo
	v_cmp_ne_u32_e32 vcc_lo, 0, v31
	v_lshlrev_b32_e32 v15, v15, v87
	v_or_b32_e32 v83, 0x1000, v31
	v_lshl_or_b32 v84, v62, 12, v31
	v_lshrrev_b32_e32 v89, v47, v69
	s_wait_alu 0xfffd
	v_cndmask_b32_e64 v31, 0, 1, vcc_lo
	v_lshlrev_b32_e32 v37, v37, v88
	v_cmp_ne_u32_e32 vcc_lo, v15, v65
	v_lshrrev_b32_e32 v90, v49, v71
	v_lshl_or_b32 v12, v12, 9, 0x7c00
	v_lshl_or_b32 v31, v31, 9, 0x7c00
	v_lshlrev_b32_e32 v47, v47, v89
	s_wait_alu 0xfffd
	v_cndmask_b32_e64 v15, 0, 1, vcc_lo
	v_cmp_ne_u32_e32 vcc_lo, v37, v67
	v_lshrrev_b32_e32 v91, v51, v73
	v_lshlrev_b32_e32 v49, v49, v90
	v_lshrrev_b32_e32 v92, v53, v75
	v_lshl_or_b32 v14, v14, 9, 0x7c00
	s_wait_alu 0xfffd
	v_cndmask_b32_e64 v37, 0, 1, vcc_lo
	v_cmp_ne_u32_e32 vcc_lo, v47, v69
	v_lshlrev_b32_e32 v51, v51, v91
	v_lshrrev_b32_e32 v93, v55, v77
	v_lshlrev_b32_e32 v53, v53, v92
	v_lshrrev_b32_e32 v94, v57, v79
	s_wait_alu 0xfffd
	v_cndmask_b32_e64 v47, 0, 1, vcc_lo
	v_cmp_ne_u32_e32 vcc_lo, v49, v71
	v_lshlrev_b32_e32 v55, v55, v93
	v_lshl_or_b32 v8, v8, 9, 0x7c00
	v_lshrrev_b32_e32 v95, v59, v81
	v_lshlrev_b32_e32 v57, v57, v94
	s_wait_alu 0xfffd
	v_cndmask_b32_e64 v49, 0, 1, vcc_lo
	v_cmp_ne_u32_e32 vcc_lo, v51, v73
	v_or_b32_e32 v85, 0x1000, v34
	v_lshrrev_b32_e32 v96, v61, v83
	v_lshlrev_b32_e32 v59, v59, v95
	v_or_b32_e32 v15, v87, v15
	s_wait_alu 0xfffd
	v_cndmask_b32_e64 v51, 0, 1, vcc_lo
	v_cmp_ne_u32_e32 vcc_lo, v53, v75
	v_lshrrev_b32_e32 v97, v63, v85
	v_lshlrev_b32_e32 v61, v61, v96
	v_or_b32_e32 v37, v88, v37
	v_or_b32_e32 v47, v89, v47
	s_wait_alu 0xfffd
	v_cndmask_b32_e64 v53, 0, 1, vcc_lo
	v_cmp_ne_u32_e32 vcc_lo, v55, v77
	v_lshlrev_b32_e32 v63, v63, v97
	v_or_b32_e32 v49, v90, v49
	v_or_b32_e32 v51, v91, v51
	v_or_b32_e32 v53, v92, v53
	s_wait_alu 0xfffd
	v_cndmask_b32_e64 v55, 0, 1, vcc_lo
	v_cmp_ne_u32_e32 vcc_lo, v57, v79
	v_lshl_or_b32 v23, v23, 9, 0x7c00
	v_lshrrev_b32_e32 v16, 16, v16
	v_lshl_or_b32 v17, v17, 9, 0x7c00
	v_or_b32_e32 v55, v93, v55
	s_wait_alu 0xfffd
	v_cndmask_b32_e64 v57, 0, 1, vcc_lo
	v_cmp_ne_u32_e32 vcc_lo, v59, v81
	v_lshrrev_b32_e32 v9, 16, v9
	v_lshl_or_b32 v25, v25, 9, 0x7c00
	v_lshrrev_b32_e32 v11, 16, v11
	v_or_b32_e32 v57, v94, v57
	s_wait_alu 0xfffd
	v_cndmask_b32_e64 v59, 0, 1, vcc_lo
	v_cmp_ne_u32_e32 vcc_lo, v61, v83
	v_lshrrev_b32_e32 v13, 16, v13
	v_lshl_or_b32 v27, v27, 9, 0x7c00
	v_lshrrev_b32_e32 v24, 16, v24
	v_or_b32_e32 v59, v95, v59
	s_wait_alu 0xfffd
	v_cndmask_b32_e64 v61, 0, 1, vcc_lo
	v_cmp_ne_u32_e32 vcc_lo, v63, v85
	v_lshl_or_b32 v29, v29, 9, 0x7c00
	v_lshrrev_b32_e32 v26, 16, v26
	v_lshrrev_b32_e32 v30, 16, v30
	v_or_b32_e32 v61, v96, v61
	s_wait_alu 0xfffd
	v_cndmask_b32_e64 v63, 0, 1, vcc_lo
	v_cmp_gt_i32_e32 vcc_lo, 1, v36
	v_lshrrev_b32_e32 v18, 16, v18
	v_lshrrev_b32_e32 v28, 16, v28
	v_and_or_b32 v0, 0x1ff, v1, v0
	v_or_b32_e32 v63, v97, v63
	s_wait_alu 0xfffd
	v_cndmask_b32_e32 v15, v66, v15, vcc_lo
	v_cmp_gt_i32_e32 vcc_lo, 1, v46
	v_lshrrev_b32_e32 v32, 16, v32
	s_delay_alu instid0(VALU_DEP_3)
	v_and_b32_e32 v65, 7, v15
	s_wait_alu 0xfffd
	v_cndmask_b32_e32 v37, v68, v37, vcc_lo
	v_cmp_gt_i32_e32 vcc_lo, 1, v48
	v_lshrrev_b32_e32 v15, 2, v15
	v_cmp_eq_u32_e64 s0, 3, v65
	s_wait_alu 0xfffd
	v_cndmask_b32_e32 v47, v70, v47, vcc_lo
	v_cmp_gt_i32_e32 vcc_lo, 1, v50
	s_delay_alu instid0(VALU_DEP_2)
	v_and_b32_e32 v67, 7, v47
	s_wait_alu 0xfffd
	v_cndmask_b32_e32 v49, v72, v49, vcc_lo
	v_cmp_gt_i32_e32 vcc_lo, 1, v52
	v_lshrrev_b32_e32 v47, 2, v47
	v_cmp_lt_i32_e64 s3, 5, v67
	v_cmp_eq_u32_e64 s4, 3, v67
	s_wait_alu 0xfffd
	v_cndmask_b32_e32 v51, v74, v51, vcc_lo
	v_cmp_gt_i32_e32 vcc_lo, 1, v54
	s_delay_alu instid0(VALU_DEP_2)
	v_and_b32_e32 v69, 7, v51
	s_wait_alu 0xfffd
	v_cndmask_b32_e32 v53, v76, v53, vcc_lo
	v_cmp_gt_i32_e32 vcc_lo, 1, v56
	v_lshrrev_b32_e32 v51, 2, v51
	v_cmp_lt_i32_e64 s7, 5, v69
	v_cmp_eq_u32_e64 s8, 3, v69
	s_wait_alu 0xfffd
	v_cndmask_b32_e32 v55, v78, v55, vcc_lo
	v_cmp_gt_i32_e32 vcc_lo, 1, v58
	s_delay_alu instid0(VALU_DEP_2)
	v_and_b32_e32 v71, 7, v55
	s_wait_alu 0xfffd
	v_cndmask_b32_e32 v57, v80, v57, vcc_lo
	v_cmp_gt_i32_e32 vcc_lo, 1, v60
	v_lshrrev_b32_e32 v55, 2, v55
	v_cmp_lt_i32_e64 s11, 5, v71
	v_cmp_eq_u32_e64 s12, 3, v71
	s_wait_alu 0xfffd
	v_cndmask_b32_e32 v59, v82, v59, vcc_lo
	v_cmp_gt_i32_e32 vcc_lo, 1, v62
	s_delay_alu instid0(VALU_DEP_2)
	v_and_b32_e32 v73, 7, v59
	s_wait_alu 0xfffd
	v_cndmask_b32_e32 v61, v84, v61, vcc_lo
	v_cmp_lt_i32_e32 vcc_lo, 5, v65
	v_lshrrev_b32_e32 v59, 2, v59
	v_cmp_lt_i32_e64 s15, 5, v73
	v_cmp_eq_u32_e64 s16, 3, v73
	s_or_b32 vcc_lo, s0, vcc_lo
	s_wait_alu 0xfffe
	v_add_co_ci_u32_e32 v15, vcc_lo, 0, v15, vcc_lo
	v_and_b32_e32 v66, 7, v37
	v_lshrrev_b32_e32 v37, 2, v37
	s_delay_alu instid0(VALU_DEP_2) | instskip(SKIP_1) | instid1(VALU_DEP_1)
	v_cmp_lt_i32_e64 s1, 5, v66
	v_cmp_eq_u32_e64 s2, 3, v66
	s_or_b32 vcc_lo, s2, s1
	s_wait_alu 0xfffe
	v_add_co_ci_u32_e32 v37, vcc_lo, 0, v37, vcc_lo
	s_or_b32 vcc_lo, s4, s3
	s_wait_alu 0xfffe
	v_add_co_ci_u32_e32 v47, vcc_lo, 0, v47, vcc_lo
	v_and_b32_e32 v68, 7, v49
	v_lshrrev_b32_e32 v49, 2, v49
	s_delay_alu instid0(VALU_DEP_2) | instskip(SKIP_1) | instid1(VALU_DEP_1)
	v_cmp_lt_i32_e64 s5, 5, v68
	v_cmp_eq_u32_e64 s6, 3, v68
	s_or_b32 vcc_lo, s6, s5
	s_wait_alu 0xfffe
	v_add_co_ci_u32_e32 v49, vcc_lo, 0, v49, vcc_lo
	s_or_b32 vcc_lo, s8, s7
	;; [unrolled: 11-line block ×4, first 2 shown]
	s_wait_alu 0xfffe
	v_add_co_ci_u32_e32 v59, vcc_lo, 0, v59, vcc_lo
	v_and_b32_e32 v74, 7, v61
	v_lshrrev_b32_e32 v61, 2, v61
	s_delay_alu instid0(VALU_DEP_2) | instskip(SKIP_1) | instid1(VALU_DEP_1)
	v_cmp_lt_i32_e64 s17, 5, v74
	v_cmp_eq_u32_e64 s18, 3, v74
	s_or_b32 vcc_lo, s18, s17
	s_wait_alu 0xfffe
	v_add_co_ci_u32_e32 v61, vcc_lo, 0, v61, vcc_lo
	v_cmp_gt_i32_e32 vcc_lo, 31, v36
	s_wait_alu 0xfffd
	v_cndmask_b32_e32 v15, 0x7c00, v15, vcc_lo
	v_cmp_gt_i32_e32 vcc_lo, 31, v46
	s_wait_alu 0xfffd
	v_cndmask_b32_e32 v37, 0x7c00, v37, vcc_lo
	;; [unrolled: 3-line block ×10, first 2 shown]
	v_cmp_eq_u32_e32 vcc_lo, 0x40f, v36
	s_wait_alu 0xfffd
	v_cndmask_b32_e32 v14, v15, v14, vcc_lo
	v_cmp_eq_u32_e32 vcc_lo, 0x40f, v46
	s_delay_alu instid0(VALU_DEP_2) | instskip(SKIP_3) | instid1(VALU_DEP_3)
	v_and_or_b32 v14, 0x8000, v16, v14
	s_wait_alu 0xfffd
	v_cndmask_b32_e32 v10, v37, v10, vcc_lo
	v_cmp_eq_u32_e32 vcc_lo, 0x40f, v48
	v_and_b32_e32 v14, 0xffff, v14
	s_delay_alu instid0(VALU_DEP_3)
	v_and_or_b32 v10, 0x8000, v11, v10
	s_wait_alu 0xfffd
	v_cndmask_b32_e32 v12, v47, v12, vcc_lo
	v_cmp_eq_u32_e32 vcc_lo, 0x40f, v50
	v_add_nc_u32_e32 v64, 0xfffffc10, v64
	v_lshl_or_b32 v10, v10, 16, v14
	s_delay_alu instid0(VALU_DEP_4)
	v_and_or_b32 v11, 0x8000, v13, v12
	s_wait_alu 0xfffd
	v_cndmask_b32_e32 v15, v49, v23, vcc_lo
	v_cmp_eq_u32_e32 vcc_lo, 0x40f, v52
	v_lshl_or_b32 v86, v64, 12, v34
	v_and_b32_e32 v11, 0xffff, v11
	s_delay_alu instid0(VALU_DEP_4)
	v_and_or_b32 v12, 0x8000, v24, v15
	s_wait_alu 0xfffd
	v_cndmask_b32_e32 v8, v51, v8, vcc_lo
	v_cmp_eq_u32_e32 vcc_lo, 0x40f, v54
	s_wait_loadcnt 0x3
	v_lshrrev_b32_e32 v24, 16, v4
	v_lshl_or_b32 v11, v12, 16, v11
	v_and_or_b32 v8, 0x8000, v9, v8
	s_wait_alu 0xfffd
	v_cndmask_b32_e32 v17, v53, v17, vcc_lo
	v_cmp_eq_u32_e32 vcc_lo, 0x40f, v56
	s_delay_alu instid0(VALU_DEP_3) | instskip(NEXT) | instid1(VALU_DEP_3)
	v_and_b32_e32 v8, 0xffff, v8
	v_and_or_b32 v9, 0x8000, v18, v17
	s_wait_alu 0xfffd
	v_cndmask_b32_e32 v23, v55, v25, vcc_lo
	v_cmp_eq_u32_e32 vcc_lo, 0x40f, v58
	s_delay_alu instid0(VALU_DEP_3) | instskip(NEXT) | instid1(VALU_DEP_3)
	v_lshl_or_b32 v8, v9, 16, v8
	v_and_or_b32 v13, 0x8000, v26, v23
	s_wait_alu 0xfffd
	v_cndmask_b32_e32 v25, v57, v27, vcc_lo
	v_cmp_eq_u32_e32 vcc_lo, 0x40f, v60
	s_delay_alu instid0(VALU_DEP_3) | instskip(SKIP_3) | instid1(VALU_DEP_2)
	v_and_b32_e32 v13, 0xffff, v13
	s_wait_alu 0xfffd
	v_cndmask_b32_e32 v27, v59, v29, vcc_lo
	v_cmp_eq_u32_e32 vcc_lo, 0x40f, v62
	v_and_or_b32 v12, 0x8000, v30, v27
	s_wait_alu 0xfffd
	v_cndmask_b32_e32 v16, v61, v31, vcc_lo
	v_cmp_gt_i32_e32 vcc_lo, 1, v64
	s_delay_alu instid0(VALU_DEP_3) | instskip(SKIP_4) | instid1(VALU_DEP_3)
	v_and_b32_e32 v12, 0xffff, v12
	v_and_or_b32 v15, 0x8000, v28, v25
	s_wait_alu 0xfffd
	v_cndmask_b32_e32 v14, v86, v63, vcc_lo
	v_cmp_ne_u32_e32 vcc_lo, 0, v0
	v_lshl_or_b32 v9, v15, 16, v13
	s_clause 0x3
	global_store_b32 v[19:20], v10, off
	global_store_b32 v[38:39], v11, off
	;; [unrolled: 1-line block ×4, first 2 shown]
	v_mul_f64_e32 v[8:9], s[24:25], v[42:43]
	s_wait_alu 0xfffd
	v_cndmask_b32_e64 v0, 0, 1, vcc_lo
	v_lshrrev_b32_e32 v10, 8, v1
	v_and_or_b32 v13, 0x8000, v32, v16
	v_bfe_u32 v16, v1, 20, 11
	v_and_b32_e32 v15, 7, v14
	v_lshrrev_b32_e32 v19, 2, v14
	v_and_or_b32 v0, 0xffe, v10, v0
	ds_load_2addr_b32 v[10:11], v3 offset0:59 offset1:104
	v_sub_nc_u32_e32 v17, 0x3f1, v16
	v_cmp_lt_i32_e32 vcc_lo, 5, v15
	v_cmp_eq_u32_e64 s0, 3, v15
	v_or_b32_e32 v18, 0x1000, v0
	v_mul_f64_e32 v[14:15], s[24:25], v[44:45]
	v_med3_i32 v17, v17, 0, 13
	v_add_nc_u32_e32 v25, 0xfffffc10, v16
	s_or_b32 vcc_lo, s0, vcc_lo
	v_lshl_or_b32 v20, v13, 16, v12
	s_wait_alu 0xfffe
	v_add_co_ci_u32_e32 v19, vcc_lo, 0, v19, vcc_lo
	v_lshrrev_b32_e32 v21, v17, v18
	v_cmp_ne_u32_e32 vcc_lo, 0, v34
	v_add_co_u32 v12, s1, v40, s22
	s_wait_alu 0xf1ff
	v_add_co_ci_u32_e64 v13, s1, s23, v41, s1
	s_wait_alu 0xfffd
	v_cndmask_b32_e64 v22, 0, 1, vcc_lo
	v_lshlrev_b32_e32 v17, v17, v21
	s_wait_dscnt 0x0
	v_lshrrev_b32_e32 v23, 16, v10
	v_cmp_gt_i32_e32 vcc_lo, 31, v64
	v_lshrrev_b32_e32 v1, 16, v1
	v_lshl_or_b32 v22, v22, 9, 0x7c00
	global_store_b32 v[12:13], v20, off
	s_wait_alu 0xfffd
	v_cndmask_b32_e32 v19, 0x7c00, v19, vcc_lo
	v_cmp_ne_u32_e32 vcc_lo, v17, v18
	v_mul_f16_e32 v18, v23, v24
	v_and_or_b32 v8, 0x1ff, v9, v8
	v_lshrrev_b32_e32 v26, 8, v9
	s_wait_alu 0xfffd
	v_cndmask_b32_e64 v17, 0, 1, vcc_lo
	v_fmac_f16_e32 v18, v10, v4
	v_bfe_u32 v27, v9, 20, 11
	v_cmp_ne_u32_e32 vcc_lo, 0, v8
	v_mul_f16_e32 v10, v10, v24
	v_or_b32_e32 v16, v21, v17
	v_lshl_or_b32 v17, v25, 12, v0
	v_cvt_f32_f16_e32 v18, v18
	s_wait_alu 0xfffd
	v_cndmask_b32_e64 v8, 0, 1, vcc_lo
	v_cmp_gt_i32_e32 vcc_lo, 1, v25
	global_load_b32 v21, v33, s[20:21] offset:1980
	v_and_or_b32 v14, 0x1ff, v15, v14
	v_bfe_u32 v30, v15, 20, 11
	v_and_or_b32 v8, 0xffe, v26, v8
	s_wait_alu 0xfffd
	v_cndmask_b32_e32 v28, v17, v16, vcc_lo
	v_cvt_f64_f32_e32 v[16:17], v18
	v_sub_nc_u32_e32 v18, 0x3f1, v27
	v_cmp_eq_u32_e32 vcc_lo, 0x40f, v64
	v_or_b32_e32 v29, 0x1000, v8
	v_and_b32_e32 v26, 7, v28
	v_cmp_ne_u32_e64 s1, 0, v14
	v_med3_i32 v18, v18, 0, 13
	s_wait_alu 0xfffd
	v_cndmask_b32_e32 v19, v19, v22, vcc_lo
	v_lshrrev_b32_e32 v22, 16, v35
	v_cmp_lt_i32_e32 vcc_lo, 5, v26
	v_cmp_eq_u32_e64 s0, 3, v26
	s_wait_alu 0xf1ff
	v_cndmask_b32_e64 v14, 0, 1, s1
	v_lshrrev_b32_e32 v26, 8, v15
	v_and_or_b32 v22, 0x8000, v22, v19
	v_lshrrev_b32_e32 v19, v18, v29
	v_lshrrev_b32_e32 v24, 2, v28
	v_fma_f16 v4, v4, v23, -v10
	v_and_or_b32 v14, 0xffe, v26, v14
	v_sub_nc_u32_e32 v26, 0x3f1, v30
	v_lshlrev_b32_e32 v18, v18, v19
	s_or_b32 vcc_lo, s0, vcc_lo
	v_add_nc_u32_e32 v23, 0xfffffc10, v27
	s_wait_alu 0xfffe
	v_add_co_ci_u32_e32 v24, vcc_lo, 0, v24, vcc_lo
	v_cmp_ne_u32_e64 s1, v18, v29
	v_or_b32_e32 v27, 0x1000, v14
	v_med3_i32 v26, v26, 0, 13
	v_cvt_f32_f16_e32 v4, v4
	v_cmp_ne_u32_e32 vcc_lo, 0, v0
	s_wait_alu 0xf1ff
	v_cndmask_b32_e64 v10, 0, 1, s1
	v_lshl_or_b32 v28, v23, 12, v8
	v_and_b32_e32 v22, 0xffff, v22
	v_lshrrev_b32_e32 v9, 16, v9
	s_wait_alu 0xfffd
	v_cndmask_b32_e64 v0, 0, 1, vcc_lo
	v_or_b32_e32 v10, v19, v10
	v_cvt_f64_f32_e32 v[18:19], v4
	v_lshrrev_b32_e32 v4, v26, v27
	v_cmp_gt_i32_e32 vcc_lo, 1, v23
	v_mul_f64_e32 v[16:17], s[24:25], v[16:17]
	v_lshl_or_b32 v0, v0, 9, 0x7c00
	s_delay_alu instid0(VALU_DEP_4) | instskip(SKIP_3) | instid1(VALU_DEP_2)
	v_lshlrev_b32_e32 v26, v26, v4
	s_wait_alu 0xfffd
	v_cndmask_b32_e32 v10, v28, v10, vcc_lo
	v_cmp_gt_i32_e32 vcc_lo, 31, v25
	v_and_b32_e32 v28, 7, v10
	s_wait_alu 0xfffd
	v_cndmask_b32_e32 v24, 0x7c00, v24, vcc_lo
	v_cmp_ne_u32_e32 vcc_lo, v26, v27
	v_add_nc_u32_e32 v27, 0xfffffc10, v30
	v_lshrrev_b32_e32 v10, 2, v10
	v_cmp_eq_u32_e64 s0, 3, v28
	s_wait_alu 0xfffd
	v_cndmask_b32_e64 v26, 0, 1, vcc_lo
	v_cmp_eq_u32_e32 vcc_lo, 0x40f, v25
	v_cmp_gt_i32_e64 s1, 1, v27
	s_delay_alu instid0(VALU_DEP_3)
	v_or_b32_e32 v4, v4, v26
	s_wait_alu 0xfffd
	v_cndmask_b32_e32 v0, v24, v0, vcc_lo
	v_cmp_lt_i32_e32 vcc_lo, 5, v28
	v_lshl_or_b32 v24, v27, 12, v14
	v_lshrrev_b32_e32 v26, 16, v11
	s_wait_loadcnt 0x3
	v_lshrrev_b32_e32 v28, 16, v5
	s_or_b32 vcc_lo, s0, vcc_lo
	v_cndmask_b32_e64 v4, v24, v4, s1
	s_wait_alu 0xfffe
	v_add_co_ci_u32_e32 v10, vcc_lo, 0, v10, vcc_lo
	v_cmp_gt_i32_e32 vcc_lo, 31, v23
	v_and_or_b32 v24, 0x8000, v1, v0
	v_and_b32_e32 v25, 7, v4
	v_mul_f64_e32 v[0:1], s[24:25], v[18:19]
	v_lshrrev_b32_e32 v4, 2, v4
	s_wait_alu 0xfffd
	v_cndmask_b32_e32 v10, 0x7c00, v10, vcc_lo
	v_cmp_ne_u32_e32 vcc_lo, 0, v8
	v_cmp_eq_u32_e64 s0, 3, v25
	v_and_or_b32 v16, 0x1ff, v17, v16
	v_mul_f16_e32 v18, v26, v28
	v_lshrrev_b32_e32 v19, 8, v17
	s_wait_alu 0xfffd
	v_cndmask_b32_e64 v8, 0, 1, vcc_lo
	v_cmp_lt_i32_e32 vcc_lo, 5, v25
	v_bfe_u32 v25, v17, 20, 11
	v_fmac_f16_e32 v18, v11, v5
	v_lshl_or_b32 v20, v24, 16, v22
	v_lshl_or_b32 v8, v8, 9, 0x7c00
	s_or_b32 vcc_lo, s0, vcc_lo
	v_sub_nc_u32_e32 v29, 0x3f1, v25
	s_wait_alu 0xfffe
	v_add_co_ci_u32_e32 v4, vcc_lo, 0, v4, vcc_lo
	v_cmp_ne_u32_e32 vcc_lo, 0, v16
	v_cvt_f32_f16_e32 v18, v18
	v_med3_i32 v29, v29, 0, 13
	s_wait_alu 0xfffd
	v_cndmask_b32_e64 v16, 0, 1, vcc_lo
	v_cmp_ne_u32_e32 vcc_lo, 0, v14
	s_delay_alu instid0(VALU_DEP_2)
	v_and_or_b32 v16, 0xffe, v19, v16
	s_wait_alu 0xfffd
	v_cndmask_b32_e64 v14, 0, 1, vcc_lo
	v_cmp_gt_i32_e32 vcc_lo, 31, v27
	v_cvt_f64_f32_e32 v[18:19], v18
	v_or_b32_e32 v30, 0x1000, v16
	s_delay_alu instid0(VALU_DEP_4)
	v_lshl_or_b32 v14, v14, 9, 0x7c00
	s_wait_alu 0xfffd
	v_cndmask_b32_e32 v4, 0x7c00, v4, vcc_lo
	v_cmp_eq_u32_e32 vcc_lo, 0x40f, v23
	v_and_or_b32 v0, 0x1ff, v1, v0
	v_bfe_u32 v23, v1, 20, 11
	s_wait_alu 0xfffd
	v_cndmask_b32_e32 v8, v10, v8, vcc_lo
	v_lshrrev_b32_e32 v10, v29, v30
	v_cmp_eq_u32_e32 vcc_lo, 0x40f, v27
	s_delay_alu instid0(VALU_DEP_3) | instskip(SKIP_4) | instid1(VALU_DEP_2)
	v_and_or_b32 v22, 0x8000, v9, v8
	s_wait_alu 0xfffd
	v_cndmask_b32_e32 v4, v4, v14, vcc_lo
	v_lshrrev_b32_e32 v14, 16, v15
	v_lshlrev_b32_e32 v15, v29, v10
	v_and_or_b32 v14, 0x8000, v14, v4
	s_delay_alu instid0(VALU_DEP_2)
	v_cmp_ne_u32_e32 vcc_lo, v15, v30
	v_mul_f16_e32 v4, v11, v28
	v_add_nc_u32_e32 v15, 0xfffffc10, v25
	s_wait_alu 0xfffd
	v_cndmask_b32_e64 v8, 0, 1, vcc_lo
	v_cmp_ne_u32_e32 vcc_lo, 0, v0
	v_fma_f16 v4, v5, v26, -v4
	v_lshrrev_b32_e32 v5, 8, v1
	v_lshl_or_b32 v9, v15, 12, v16
	v_or_b32_e32 v8, v10, v8
	s_wait_alu 0xfffd
	v_cndmask_b32_e64 v0, 0, 1, vcc_lo
	v_cvt_f32_f16_e32 v4, v4
	v_sub_nc_u32_e32 v10, 0x3f1, v23
	v_cmp_gt_i32_e32 vcc_lo, 1, v15
	s_delay_alu instid0(VALU_DEP_4) | instskip(NEXT) | instid1(VALU_DEP_4)
	v_and_or_b32 v0, 0xffe, v5, v0
	v_cvt_f64_f32_e32 v[4:5], v4
	s_delay_alu instid0(VALU_DEP_4)
	v_med3_i32 v26, v10, 0, 13
	s_wait_alu 0xfffd
	v_cndmask_b32_e32 v24, v9, v8, vcc_lo
	v_mul_f64_e32 v[10:11], s[24:25], v[18:19]
	v_or_b32_e32 v25, 0x1000, v0
	ds_load_2addr_b32 v[8:9], v3 offset0:149 offset1:194
	v_and_b32_e32 v3, 0xffff, v22
	v_and_b32_e32 v18, 7, v24
	v_add_co_u32 v12, vcc_lo, v12, s22
	v_lshrrev_b32_e32 v19, v26, v25
	s_wait_alu 0xfffd
	v_add_co_ci_u32_e32 v13, vcc_lo, s23, v13, vcc_lo
	v_cmp_lt_i32_e32 vcc_lo, 5, v18
	v_cmp_eq_u32_e64 s0, 3, v18
	v_lshlrev_b32_e32 v22, v26, v19
	v_lshl_or_b32 v26, v14, 16, v3
	v_lshrrev_b32_e32 v3, 2, v24
	v_add_nc_u32_e32 v18, 0xfffffc10, v23
	s_or_b32 vcc_lo, s0, vcc_lo
	v_cmp_ne_u32_e64 s1, v22, v25
	s_wait_loadcnt 0x2
	v_lshrrev_b32_e32 v23, 16, v6
	s_wait_alu 0xfffe
	v_add_co_ci_u32_e32 v3, vcc_lo, 0, v3, vcc_lo
	v_cmp_ne_u32_e32 vcc_lo, 0, v16
	s_wait_alu 0xf1ff
	v_cndmask_b32_e64 v14, 0, 1, s1
	s_wait_dscnt 0x0
	v_lshrrev_b32_e32 v22, 16, v8
	s_wait_alu 0xfffd
	v_cndmask_b32_e64 v16, 0, 1, vcc_lo
	v_or_b32_e32 v14, v19, v14
	v_lshl_or_b32 v19, v18, 12, v0
	v_cmp_gt_i32_e32 vcc_lo, 1, v18
	v_mul_f16_e32 v24, v22, v23
	v_lshl_or_b32 v16, v16, 9, 0x7c00
	s_wait_alu 0xfffd
	v_cndmask_b32_e32 v19, v19, v14, vcc_lo
	v_cmp_gt_i32_e32 vcc_lo, 31, v15
	v_fmac_f16_e32 v24, v8, v6
	v_and_or_b32 v10, 0x1ff, v11, v10
	s_delay_alu instid0(VALU_DEP_4)
	v_and_b32_e32 v25, 7, v19
	s_wait_alu 0xfffd
	v_cndmask_b32_e32 v14, 0x7c00, v3, vcc_lo
	v_cmp_eq_u32_e32 vcc_lo, 0x40f, v15
	v_mul_f64_e32 v[3:4], s[24:25], v[4:5]
	v_cmp_ne_u32_e64 s1, 0, v10
	v_cmp_eq_u32_e64 s0, 3, v25
	s_wait_alu 0xfffd
	v_cndmask_b32_e32 v5, v14, v16, vcc_lo
	v_cvt_f32_f16_e32 v14, v24
	v_cmp_lt_i32_e32 vcc_lo, 5, v25
	v_lshrrev_b32_e32 v16, 16, v17
	v_lshrrev_b32_e32 v17, 2, v19
	s_wait_alu 0xf1ff
	v_cndmask_b32_e64 v10, 0, 1, s1
	v_cvt_f64_f32_e32 v[14:15], v14
	v_lshrrev_b32_e32 v19, 8, v11
	v_bfe_u32 v24, v11, 20, 11
	s_or_b32 vcc_lo, s0, vcc_lo
	v_and_or_b32 v5, 0x8000, v16, v5
	s_wait_alu 0xfffe
	v_add_co_ci_u32_e32 v17, vcc_lo, 0, v17, vcc_lo
	v_cmp_ne_u32_e32 vcc_lo, 0, v0
	v_and_or_b32 v10, 0xffe, v19, v10
	v_sub_nc_u32_e32 v19, 0x3f1, v24
	v_lshrrev_b32_e32 v11, 16, v11
	s_wait_alu 0xfffd
	v_cndmask_b32_e64 v0, 0, 1, vcc_lo
	v_cmp_gt_i32_e32 vcc_lo, 31, v18
	v_or_b32_e32 v25, 0x1000, v10
	v_med3_i32 v19, v19, 0, 13
	s_delay_alu instid0(VALU_DEP_4)
	v_lshl_or_b32 v0, v0, 9, 0x7c00
	s_wait_alu 0xfffd
	v_cndmask_b32_e32 v17, 0x7c00, v17, vcc_lo
	v_cmp_eq_u32_e32 vcc_lo, 0x40f, v18
	v_lshrrev_b32_e32 v18, v19, v25
	s_wait_alu 0xfffd
	s_delay_alu instid0(VALU_DEP_1)
	v_dual_cndmask_b32 v16, v17, v0 :: v_dual_lshlrev_b32 v19, v19, v18
	v_lshrrev_b32_e32 v17, 16, v1
	v_add_co_u32 v0, vcc_lo, v12, s22
	s_wait_alu 0xfffd
	v_add_co_ci_u32_e32 v1, vcc_lo, s23, v13, vcc_lo
	v_and_or_b32 v3, 0x1ff, v4, v3
	v_cmp_ne_u32_e32 vcc_lo, v19, v25
	v_and_or_b32 v16, 0x8000, v17, v16
	v_and_b32_e32 v17, 0xffff, v5
	v_mul_f16_e32 v5, v8, v23
	v_add_nc_u32_e32 v19, 0xfffffc10, v24
	s_wait_alu 0xfffd
	v_cndmask_b32_e64 v8, 0, 1, vcc_lo
	v_cmp_ne_u32_e32 vcc_lo, 0, v3
	v_bfe_u32 v23, v4, 20, 11
	v_fma_f16 v22, v6, v22, -v5
	v_mul_f64_e32 v[5:6], s[24:25], v[14:15]
	v_lshrrev_b32_e32 v14, 8, v4
	s_wait_alu 0xfffd
	v_cndmask_b32_e64 v3, 0, 1, vcc_lo
	v_or_b32_e32 v8, v18, v8
	v_cvt_f32_f16_e32 v15, v22
	v_lshl_or_b32 v18, v19, 12, v10
	v_sub_nc_u32_e32 v22, 0x3f1, v23
	v_and_or_b32 v3, 0xffe, v14, v3
	v_cmp_gt_i32_e32 vcc_lo, 1, v19
	v_cvt_f64_f32_e32 v[14:15], v15
	global_store_b32 v[12:13], v20, off
	global_store_b32 v[0:1], v26, off
	v_med3_i32 v22, v22, 0, 13
	v_lshl_or_b32 v16, v16, 16, v17
	s_wait_alu 0xfffd
	v_cndmask_b32_e32 v8, v18, v8, vcc_lo
	v_or_b32_e32 v18, 0x1000, v3
	v_add_co_u32 v0, vcc_lo, v0, s22
	s_wait_alu 0xfffd
	v_add_co_ci_u32_e32 v1, vcc_lo, s23, v1, vcc_lo
	s_delay_alu instid0(VALU_DEP_3)
	v_lshrrev_b32_e32 v13, v22, v18
	v_and_b32_e32 v12, 7, v8
	v_lshrrev_b32_e32 v20, 16, v9
	v_lshrrev_b32_e32 v8, 2, v8
	;; [unrolled: 1-line block ×3, first 2 shown]
	v_lshlrev_b32_e32 v17, v22, v13
	v_cmp_lt_i32_e32 vcc_lo, 5, v12
	v_cmp_eq_u32_e64 s0, 3, v12
	s_wait_loadcnt 0x1
	v_lshrrev_b32_e32 v22, 16, v7
	v_cmp_ne_u32_e64 s1, v17, v18
	v_add_nc_u32_e32 v17, 0xfffffc10, v23
	s_or_b32 vcc_lo, s0, vcc_lo
	s_delay_alu instid0(VALU_DEP_3)
	v_mul_f16_e32 v18, v20, v22
	s_wait_alu 0xfffe
	v_add_co_ci_u32_e32 v8, vcc_lo, 0, v8, vcc_lo
	v_cndmask_b32_e64 v12, 0, 1, s1
	v_cmp_ne_u32_e32 vcc_lo, 0, v10
	v_fmac_f16_e32 v18, v9, v7
	v_and_or_b32 v5, 0x1ff, v6, v5
	v_bfe_u32 v24, v6, 20, 11
	v_or_b32_e32 v12, v13, v12
	v_lshl_or_b32 v13, v17, 12, v3
	s_wait_alu 0xfffd
	v_cndmask_b32_e64 v10, 0, 1, vcc_lo
	v_cmp_gt_i32_e32 vcc_lo, 1, v17
	v_cvt_f32_f16_e32 v18, v18
	v_cmp_eq_u32_e64 s1, 0x40f, v19
	v_mul_f64_e32 v[14:15], s[24:25], v[14:15]
	s_wait_alu 0xfffd
	v_cndmask_b32_e32 v23, v13, v12, vcc_lo
	v_cmp_ne_u32_e32 vcc_lo, 0, v5
	v_cvt_f64_f32_e32 v[12:13], v18
	v_lshrrev_b32_e32 v18, 8, v6
	v_lshl_or_b32 v10, v10, 9, 0x7c00
	v_and_b32_e32 v25, 7, v23
	s_wait_alu 0xfffd
	v_cndmask_b32_e64 v5, 0, 1, vcc_lo
	v_cmp_gt_i32_e32 vcc_lo, 31, v19
	v_lshrrev_b32_e32 v6, 16, v6
	v_cmp_eq_u32_e64 s0, 3, v25
	s_delay_alu instid0(VALU_DEP_4)
	v_and_or_b32 v18, 0xffe, v18, v5
	s_wait_alu 0xfffd
	v_cndmask_b32_e32 v8, 0x7c00, v8, vcc_lo
	v_sub_nc_u32_e32 v5, 0x3f1, v24
	v_cmp_lt_i32_e32 vcc_lo, 5, v25
	v_or_b32_e32 v25, 0x1000, v18
	s_wait_alu 0xf1ff
	v_cndmask_b32_e64 v8, v8, v10, s1
	v_lshrrev_b32_e32 v10, 2, v23
	v_med3_i32 v5, v5, 0, 13
	s_or_b32 vcc_lo, s0, vcc_lo
	v_add_nc_u32_e32 v23, 0xfffffc10, v24
	v_and_or_b32 v11, 0x8000, v11, v8
	s_wait_alu 0xfffe
	v_add_co_ci_u32_e32 v10, vcc_lo, 0, v10, vcc_lo
	v_lshrrev_b32_e32 v19, v5, v25
	v_cmp_ne_u32_e32 vcc_lo, 0, v3
	v_and_b32_e32 v11, 0xffff, v11
	s_delay_alu instid0(VALU_DEP_3) | instskip(SKIP_3) | instid1(VALU_DEP_2)
	v_lshlrev_b32_e32 v5, v5, v19
	s_wait_alu 0xfffd
	v_cndmask_b32_e64 v3, 0, 1, vcc_lo
	v_cmp_gt_i32_e32 vcc_lo, 31, v17
	v_lshl_or_b32 v3, v3, 9, 0x7c00
	s_wait_alu 0xfffd
	v_cndmask_b32_e32 v8, 0x7c00, v10, vcc_lo
	v_cmp_ne_u32_e32 vcc_lo, v5, v25
	s_wait_alu 0xfffd
	v_cndmask_b32_e64 v5, 0, 1, vcc_lo
	v_cmp_eq_u32_e32 vcc_lo, 0x40f, v17
	v_mul_f16_e32 v17, v9, v22
	s_delay_alu instid0(VALU_DEP_3)
	v_or_b32_e32 v5, v19, v5
	s_wait_alu 0xfffd
	v_cndmask_b32_e32 v10, v8, v3, vcc_lo
	v_mul_f64_e32 v[8:9], s[24:25], v[12:13]
	ds_load_2addr_b32 v[2:3], v2 offset0:111 offset1:156
	v_lshl_or_b32 v19, v23, 12, v18
	v_and_or_b32 v12, 0x1ff, v15, v14
	v_cmp_gt_i32_e32 vcc_lo, 1, v23
	v_fma_f16 v7, v7, v20, -v17
	v_bfe_u32 v14, v15, 20, 11
	v_and_or_b32 v10, 0x8000, v4, v10
	s_wait_loadcnt 0x0
	v_lshrrev_b32_e32 v20, 16, v21
	s_wait_alu 0xfffd
	v_cndmask_b32_e32 v13, v19, v5, vcc_lo
	v_cmp_ne_u32_e32 vcc_lo, 0, v12
	v_lshrrev_b32_e32 v12, 8, v15
	v_cvt_f32_f16_e32 v7, v7
	s_delay_alu instid0(VALU_DEP_4) | instskip(SKIP_2) | instid1(VALU_DEP_2)
	v_and_b32_e32 v17, 7, v13
	s_wait_alu 0xfffd
	v_cndmask_b32_e64 v5, 0, 1, vcc_lo
	v_cmp_lt_i32_e32 vcc_lo, 5, v17
	s_delay_alu instid0(VALU_DEP_2)
	v_and_or_b32 v19, 0xffe, v12, v5
	v_cvt_f64_f32_e32 v[4:5], v7
	v_sub_nc_u32_e32 v7, 0x3f1, v14
	v_cmp_eq_u32_e64 s0, 3, v17
	s_wait_dscnt 0x0
	v_lshrrev_b32_e32 v12, 16, v2
	v_lshl_or_b32 v17, v10, 16, v11
	v_lshrrev_b32_e32 v10, 2, v13
	v_or_b32_e32 v22, 0x1000, v19
	v_med3_i32 v7, v7, 0, 13
	s_or_b32 vcc_lo, s0, vcc_lo
	v_mul_f16_e32 v24, v12, v20
	s_wait_alu 0xfffe
	v_add_co_ci_u32_e32 v10, vcc_lo, 0, v10, vcc_lo
	v_lshrrev_b32_e32 v11, v7, v22
	v_cmp_ne_u32_e32 vcc_lo, 0, v18
	v_fmac_f16_e32 v24, v2, v21
	v_add_nc_u32_e32 v14, 0xfffffc10, v14
	v_mul_f16_e32 v2, v2, v20
	v_lshlrev_b32_e32 v18, v7, v11
	s_wait_alu 0xfffd
	v_cndmask_b32_e64 v13, 0, 1, vcc_lo
	v_cmp_gt_i32_e32 vcc_lo, 31, v23
	v_cvt_f32_f16_e32 v7, v24
	v_lshrrev_b32_e32 v20, 8, v9
	v_fma_f16 v2, v21, v12, -v2
	v_lshl_or_b32 v12, v14, 12, v19
	s_wait_alu 0xfffd
	v_cndmask_b32_e32 v24, 0x7c00, v10, vcc_lo
	v_and_or_b32 v10, 0x1ff, v9, v8
	v_cmp_ne_u32_e32 vcc_lo, v18, v22
	v_cvt_f64_f32_e32 v[7:8], v7
	v_lshl_or_b32 v13, v13, 9, 0x7c00
	v_cvt_f32_f16_e32 v2, v2
	s_wait_alu 0xfffd
	v_cndmask_b32_e64 v18, 0, 1, vcc_lo
	v_cmp_ne_u32_e32 vcc_lo, 0, v10
	s_delay_alu instid0(VALU_DEP_2)
	v_or_b32_e32 v11, v11, v18
	s_wait_alu 0xfffd
	v_cndmask_b32_e64 v10, 0, 1, vcc_lo
	v_bfe_u32 v18, v9, 20, 11
	v_cmp_gt_i32_e32 vcc_lo, 1, v14
	v_mul_f64_e32 v[4:5], s[24:25], v[4:5]
	v_lshrrev_b32_e32 v9, 16, v9
	v_and_or_b32 v20, 0xffe, v20, v10
	v_sub_nc_u32_e32 v10, 0x3f1, v18
	s_wait_alu 0xfffd
	v_cndmask_b32_e32 v21, v12, v11, vcc_lo
	v_cmp_eq_u32_e32 vcc_lo, 0x40f, v23
	v_add_nc_u32_e32 v18, 0xfffffc10, v18
	v_or_b32_e32 v22, 0x1000, v20
	v_med3_i32 v25, v10, 0, 13
	v_cvt_f64_f32_e32 v[10:11], v2
	s_wait_alu 0xfffd
	v_cndmask_b32_e32 v2, v24, v13, vcc_lo
	v_add_co_u32 v12, vcc_lo, v0, s22
	v_lshrrev_b32_e32 v24, v25, v22
	s_wait_alu 0xfffd
	v_add_co_ci_u32_e32 v13, vcc_lo, s23, v1, vcc_lo
	v_and_or_b32 v2, 0x8000, v6, v2
	s_delay_alu instid0(VALU_DEP_3) | instskip(NEXT) | instid1(VALU_DEP_2)
	v_lshlrev_b32_e32 v25, v25, v24
	v_and_b32_e32 v2, 0xffff, v2
	v_and_b32_e32 v23, 7, v21
	v_lshrrev_b32_e32 v21, 2, v21
	s_delay_alu instid0(VALU_DEP_4) | instskip(SKIP_1) | instid1(VALU_DEP_4)
	v_cmp_ne_u32_e64 s1, v25, v22
	v_mul_f64_e32 v[6:7], s[24:25], v[7:8]
	v_cmp_lt_i32_e32 vcc_lo, 5, v23
	v_cmp_eq_u32_e64 s0, 3, v23
	s_wait_alu 0xf1ff
	v_cndmask_b32_e64 v22, 0, 1, s1
	s_delay_alu instid0(VALU_DEP_2)
	s_or_b32 vcc_lo, s0, vcc_lo
	s_wait_alu 0xfffe
	v_add_co_ci_u32_e32 v8, vcc_lo, 0, v21, vcc_lo
	v_cmp_ne_u32_e32 vcc_lo, 0, v19
	v_or_b32_e32 v21, v24, v22
	v_lshl_or_b32 v22, v18, 12, v20
	v_and_or_b32 v4, 0x1ff, v5, v4
	s_wait_alu 0xfffd
	v_cndmask_b32_e64 v19, 0, 1, vcc_lo
	v_cmp_gt_i32_e32 vcc_lo, 31, v14
	s_delay_alu instid0(VALU_DEP_2)
	v_lshl_or_b32 v19, v19, 9, 0x7c00
	s_wait_alu 0xfffd
	v_cndmask_b32_e32 v8, 0x7c00, v8, vcc_lo
	v_cmp_gt_i32_e32 vcc_lo, 1, v18
	v_mul_f64_e32 v[10:11], s[24:25], v[10:11]
	s_wait_alu 0xfffd
	v_cndmask_b32_e32 v21, v22, v21, vcc_lo
	v_cmp_eq_u32_e32 vcc_lo, 0x40f, v14
	v_lshrrev_b32_e32 v14, 16, v15
	v_bfe_u32 v22, v5, 20, 11
	s_wait_alu 0xfffd
	v_dual_cndmask_b32 v8, v8, v19 :: v_dual_and_b32 v15, 7, v21
	v_cmp_ne_u32_e32 vcc_lo, 0, v4
	v_lshrrev_b32_e32 v19, 8, v5
	v_and_or_b32 v6, 0x1ff, v7, v6
	s_delay_alu instid0(VALU_DEP_4)
	v_cmp_eq_u32_e64 s0, 3, v15
	v_and_or_b32 v8, 0x8000, v14, v8
	s_wait_alu 0xfffd
	v_cndmask_b32_e64 v4, 0, 1, vcc_lo
	v_cmp_lt_i32_e32 vcc_lo, 5, v15
	v_sub_nc_u32_e32 v14, 0x3f1, v22
	v_bfe_u32 v23, v7, 20, 11
	v_lshl_or_b32 v2, v8, 16, v2
	v_lshrrev_b32_e32 v8, 2, v21
	v_and_or_b32 v4, 0xffe, v19, v4
	s_or_b32 vcc_lo, s0, vcc_lo
	v_med3_i32 v14, v14, 0, 13
	v_lshrrev_b32_e32 v21, 8, v7
	s_wait_alu 0xfffe
	v_add_co_ci_u32_e32 v8, vcc_lo, 0, v8, vcc_lo
	v_or_b32_e32 v15, 0x1000, v4
	v_cmp_ne_u32_e32 vcc_lo, 0, v20
	v_lshrrev_b32_e32 v5, 16, v5
	v_lshrrev_b32_e32 v7, 16, v7
	s_delay_alu instid0(VALU_DEP_4) | instskip(SKIP_3) | instid1(VALU_DEP_3)
	v_lshrrev_b32_e32 v20, v14, v15
	s_wait_alu 0xfffd
	v_cndmask_b32_e64 v19, 0, 1, vcc_lo
	v_cmp_gt_i32_e32 vcc_lo, 31, v18
	v_lshlrev_b32_e32 v14, v14, v20
	s_delay_alu instid0(VALU_DEP_3)
	v_lshl_or_b32 v19, v19, 9, 0x7c00
	s_wait_alu 0xfffd
	v_cndmask_b32_e32 v8, 0x7c00, v8, vcc_lo
	v_cmp_ne_u32_e32 vcc_lo, 0, v6
	v_and_or_b32 v10, 0x1ff, v11, v10
	s_wait_alu 0xfffd
	v_cndmask_b32_e64 v6, 0, 1, vcc_lo
	v_cmp_ne_u32_e32 vcc_lo, v14, v15
	v_add_nc_u32_e32 v15, 0xfffffc10, v22
	v_bfe_u32 v22, v11, 20, 11
	s_delay_alu instid0(VALU_DEP_4)
	v_and_or_b32 v6, 0xffe, v21, v6
	s_wait_alu 0xfffd
	v_cndmask_b32_e64 v14, 0, 1, vcc_lo
	v_sub_nc_u32_e32 v21, 0x3f1, v23
	v_cmp_eq_u32_e32 vcc_lo, 0x40f, v18
	v_lshl_or_b32 v18, v15, 12, v4
	s_delay_alu instid0(VALU_DEP_4) | instskip(NEXT) | instid1(VALU_DEP_4)
	v_or_b32_e32 v14, v20, v14
	v_med3_i32 v20, v21, 0, 13
	s_wait_alu 0xfffd
	v_cndmask_b32_e32 v8, v8, v19, vcc_lo
	v_or_b32_e32 v19, 0x1000, v6
	v_cmp_gt_i32_e32 vcc_lo, 1, v15
	v_lshrrev_b32_e32 v21, 8, v11
	s_delay_alu instid0(VALU_DEP_4)
	v_and_or_b32 v8, 0x8000, v9, v8
	s_wait_alu 0xfffd
	v_cndmask_b32_e32 v14, v18, v14, vcc_lo
	v_lshrrev_b32_e32 v18, v20, v19
	v_cmp_ne_u32_e32 vcc_lo, 0, v10
	v_and_b32_e32 v8, 0xffff, v8
	s_delay_alu instid0(VALU_DEP_4) | instskip(NEXT) | instid1(VALU_DEP_4)
	v_and_b32_e32 v24, 7, v14
	v_lshlrev_b32_e32 v20, v20, v18
	s_wait_alu 0xfffd
	v_cndmask_b32_e64 v10, 0, 1, vcc_lo
	v_lshrrev_b32_e32 v14, 2, v14
	v_cmp_lt_i32_e32 vcc_lo, 5, v24
	v_cmp_ne_u32_e64 s0, v20, v19
	s_delay_alu instid0(VALU_DEP_4)
	v_and_or_b32 v9, 0xffe, v21, v10
	v_sub_nc_u32_e32 v10, 0x3f1, v22
	v_add_nc_u32_e32 v21, 0xfffffc10, v23
	s_wait_alu 0xf1ff
	v_cndmask_b32_e64 v19, 0, 1, s0
	v_cmp_eq_u32_e64 s0, 3, v24
	v_or_b32_e32 v20, 0x1000, v9
	v_med3_i32 v10, v10, 0, 13
	v_lshl_or_b32 v23, v21, 12, v6
	v_or_b32_e32 v18, v18, v19
	s_or_b32 vcc_lo, s0, vcc_lo
	s_wait_alu 0xfffe
	v_add_co_ci_u32_e32 v14, vcc_lo, 0, v14, vcc_lo
	v_lshrrev_b32_e32 v19, v10, v20
	v_cmp_gt_i32_e32 vcc_lo, 1, v21
	s_delay_alu instid0(VALU_DEP_2)
	v_lshlrev_b32_e32 v10, v10, v19
	s_wait_alu 0xfffd
	v_cndmask_b32_e32 v18, v23, v18, vcc_lo
	v_cmp_ne_u32_e32 vcc_lo, 0, v4
	s_wait_alu 0xfffd
	v_cndmask_b32_e64 v4, 0, 1, vcc_lo
	v_cmp_ne_u32_e32 vcc_lo, v10, v20
	v_add_nc_u32_e32 v20, 0xfffffc10, v22
	v_and_b32_e32 v22, 7, v18
	s_delay_alu instid0(VALU_DEP_4)
	v_lshl_or_b32 v4, v4, 9, 0x7c00
	s_wait_alu 0xfffd
	v_cndmask_b32_e64 v10, 0, 1, vcc_lo
	v_cmp_gt_i32_e32 vcc_lo, 31, v15
	v_cmp_gt_i32_e64 s1, 1, v20
	v_cmp_eq_u32_e64 s0, 3, v22
	s_delay_alu instid0(VALU_DEP_4)
	v_or_b32_e32 v10, v19, v10
	v_lshl_or_b32 v19, v20, 12, v9
	s_wait_alu 0xfffd
	v_cndmask_b32_e32 v14, 0x7c00, v14, vcc_lo
	v_cmp_lt_i32_e32 vcc_lo, 5, v22
	s_wait_alu 0xf1ff
	v_cndmask_b32_e64 v10, v19, v10, s1
	v_cmp_eq_u32_e64 s1, 0x40f, v15
	s_or_b32 vcc_lo, s0, vcc_lo
	s_delay_alu instid0(VALU_DEP_2) | instskip(NEXT) | instid1(VALU_DEP_2)
	v_and_b32_e32 v15, 7, v10
	v_cndmask_b32_e64 v4, v14, v4, s1
	v_lshrrev_b32_e32 v14, 2, v18
	v_lshrrev_b32_e32 v10, 2, v10
	v_cmp_gt_i32_e64 s1, 31, v21
	v_cmp_eq_u32_e64 s0, 3, v15
	s_wait_alu 0xfffe
	v_add_co_ci_u32_e32 v14, vcc_lo, 0, v14, vcc_lo
	v_cmp_ne_u32_e32 vcc_lo, 0, v6
	s_wait_alu 0xf1ff
	s_delay_alu instid0(VALU_DEP_2) | instskip(SKIP_3) | instid1(VALU_DEP_2)
	v_cndmask_b32_e64 v14, 0x7c00, v14, s1
	s_wait_alu 0xfffd
	v_cndmask_b32_e64 v6, 0, 1, vcc_lo
	v_cmp_lt_i32_e32 vcc_lo, 5, v15
	v_lshl_or_b32 v6, v6, 9, 0x7c00
	s_or_b32 vcc_lo, s0, vcc_lo
	s_wait_alu 0xfffe
	v_add_co_ci_u32_e32 v10, vcc_lo, 0, v10, vcc_lo
	v_cmp_ne_u32_e32 vcc_lo, 0, v9
	s_wait_alu 0xfffd
	v_cndmask_b32_e64 v9, 0, 1, vcc_lo
	v_cmp_eq_u32_e32 vcc_lo, 0x40f, v21
	s_delay_alu instid0(VALU_DEP_2) | instskip(SKIP_4) | instid1(VALU_DEP_3)
	v_lshl_or_b32 v9, v9, 9, 0x7c00
	s_wait_alu 0xfffd
	v_cndmask_b32_e32 v6, v14, v6, vcc_lo
	v_cmp_gt_i32_e32 vcc_lo, 31, v20
	v_and_or_b32 v14, 0x8000, v5, v4
	v_and_or_b32 v6, 0x8000, v7, v6
	s_wait_alu 0xfffd
	v_cndmask_b32_e32 v10, 0x7c00, v10, vcc_lo
	v_cmp_eq_u32_e32 vcc_lo, 0x40f, v20
	s_wait_alu 0xfffd
	s_delay_alu instid0(VALU_DEP_2)
	v_cndmask_b32_e32 v7, v10, v9, vcc_lo
	v_lshrrev_b32_e32 v9, 16, v11
	v_add_co_u32 v4, vcc_lo, v12, s22
	s_wait_alu 0xfffd
	v_add_co_ci_u32_e32 v5, vcc_lo, s23, v13, vcc_lo
	v_lshl_or_b32 v10, v14, 16, v8
	v_and_or_b32 v8, 0x8000, v9, v7
	v_and_b32_e32 v9, 0xffff, v6
	v_add_co_u32 v6, vcc_lo, v4, s22
	s_wait_alu 0xfffd
	v_add_co_ci_u32_e32 v7, vcc_lo, s23, v5, vcc_lo
	s_delay_alu instid0(VALU_DEP_3) | instskip(NEXT) | instid1(VALU_DEP_3)
	v_lshl_or_b32 v11, v8, 16, v9
	v_add_co_u32 v8, vcc_lo, v6, s22
	s_wait_alu 0xfffd
	s_delay_alu instid0(VALU_DEP_3)
	v_add_co_ci_u32_e32 v9, vcc_lo, s23, v7, vcc_lo
	global_store_b32 v[0:1], v16, off
	global_store_b32 v[12:13], v17, off
	;; [unrolled: 1-line block ×5, first 2 shown]
	global_load_b32 v0, v33, s[20:21] offset:2160
	v_lshrrev_b32_e32 v1, 16, v3
	s_wait_loadcnt 0x0
	v_lshrrev_b32_e32 v2, 16, v0
	s_delay_alu instid0(VALU_DEP_1) | instskip(SKIP_1) | instid1(VALU_DEP_2)
	v_mul_f16_e32 v4, v1, v2
	v_mul_f16_e32 v2, v3, v2
	v_fmac_f16_e32 v4, v3, v0
	s_delay_alu instid0(VALU_DEP_2) | instskip(NEXT) | instid1(VALU_DEP_2)
	v_fma_f16 v0, v0, v1, -v2
	v_cvt_f32_f16_e32 v1, v4
	s_delay_alu instid0(VALU_DEP_2) | instskip(NEXT) | instid1(VALU_DEP_2)
	v_cvt_f32_f16_e32 v2, v0
	v_cvt_f64_f32_e32 v[0:1], v1
	s_delay_alu instid0(VALU_DEP_2) | instskip(NEXT) | instid1(VALU_DEP_2)
	v_cvt_f64_f32_e32 v[2:3], v2
	v_mul_f64_e32 v[0:1], s[24:25], v[0:1]
	s_delay_alu instid0(VALU_DEP_2) | instskip(NEXT) | instid1(VALU_DEP_2)
	v_mul_f64_e32 v[2:3], s[24:25], v[2:3]
	v_and_or_b32 v0, 0x1ff, v1, v0
	s_delay_alu instid0(VALU_DEP_2)
	v_and_or_b32 v2, 0x1ff, v3, v2
	v_lshrrev_b32_e32 v4, 8, v1
	v_bfe_u32 v5, v1, 20, 11
	v_lshrrev_b32_e32 v6, 8, v3
	v_cmp_ne_u32_e32 vcc_lo, 0, v0
	v_bfe_u32 v7, v3, 20, 11
	v_lshrrev_b32_e32 v1, 16, v1
	v_lshrrev_b32_e32 v3, 16, v3
	s_wait_alu 0xfffd
	v_cndmask_b32_e64 v0, 0, 1, vcc_lo
	v_cmp_ne_u32_e32 vcc_lo, 0, v2
	s_delay_alu instid0(VALU_DEP_2)
	v_and_or_b32 v0, 0xffe, v4, v0
	s_wait_alu 0xfffd
	v_cndmask_b32_e64 v2, 0, 1, vcc_lo
	v_sub_nc_u32_e32 v4, 0x3f1, v5
	v_add_nc_u32_e32 v5, 0xfffffc10, v5
	v_or_b32_e32 v10, 0x1000, v0
	s_delay_alu instid0(VALU_DEP_4) | instskip(SKIP_3) | instid1(VALU_DEP_4)
	v_and_or_b32 v2, 0xffe, v6, v2
	v_sub_nc_u32_e32 v6, 0x3f1, v7
	v_med3_i32 v4, v4, 0, 13
	v_add_nc_u32_e32 v7, 0xfffffc10, v7
	v_or_b32_e32 v11, 0x1000, v2
	s_delay_alu instid0(VALU_DEP_4) | instskip(NEXT) | instid1(VALU_DEP_4)
	v_med3_i32 v6, v6, 0, 13
	v_lshrrev_b32_e32 v12, v4, v10
	s_delay_alu instid0(VALU_DEP_2) | instskip(NEXT) | instid1(VALU_DEP_2)
	v_lshrrev_b32_e32 v13, v6, v11
	v_lshlrev_b32_e32 v4, v4, v12
	s_delay_alu instid0(VALU_DEP_2) | instskip(NEXT) | instid1(VALU_DEP_2)
	v_lshlrev_b32_e32 v6, v6, v13
	v_cmp_ne_u32_e32 vcc_lo, v4, v10
	v_lshl_or_b32 v10, v5, 12, v0
	s_wait_alu 0xfffd
	v_cndmask_b32_e64 v4, 0, 1, vcc_lo
	v_cmp_ne_u32_e32 vcc_lo, v6, v11
	v_lshl_or_b32 v11, v7, 12, v2
	s_delay_alu instid0(VALU_DEP_3) | instskip(SKIP_3) | instid1(VALU_DEP_2)
	v_or_b32_e32 v4, v12, v4
	s_wait_alu 0xfffd
	v_cndmask_b32_e64 v6, 0, 1, vcc_lo
	v_cmp_gt_i32_e32 vcc_lo, 1, v5
	v_or_b32_e32 v6, v13, v6
	s_wait_alu 0xfffd
	v_cndmask_b32_e32 v4, v10, v4, vcc_lo
	v_cmp_gt_i32_e32 vcc_lo, 1, v7
	s_delay_alu instid0(VALU_DEP_2) | instskip(SKIP_3) | instid1(VALU_DEP_3)
	v_and_b32_e32 v10, 7, v4
	s_wait_alu 0xfffd
	v_cndmask_b32_e32 v6, v11, v6, vcc_lo
	v_lshrrev_b32_e32 v4, 2, v4
	v_cmp_lt_i32_e32 vcc_lo, 5, v10
	v_cmp_eq_u32_e64 s0, 3, v10
	s_delay_alu instid0(VALU_DEP_4) | instskip(SKIP_1) | instid1(VALU_DEP_3)
	v_and_b32_e32 v11, 7, v6
	v_lshrrev_b32_e32 v6, 2, v6
	s_or_b32 vcc_lo, s0, vcc_lo
	s_delay_alu instid0(VALU_DEP_2)
	v_cmp_lt_i32_e64 s1, 5, v11
	s_wait_alu 0xfffe
	v_add_co_ci_u32_e32 v4, vcc_lo, 0, v4, vcc_lo
	v_cmp_eq_u32_e64 s2, 3, v11
	v_cmp_ne_u32_e32 vcc_lo, 0, v0
	s_wait_alu 0xfffd
	v_cndmask_b32_e64 v0, 0, 1, vcc_lo
	s_delay_alu instid0(VALU_DEP_3)
	s_or_b32 vcc_lo, s2, s1
	s_wait_alu 0xfffe
	v_add_co_ci_u32_e32 v6, vcc_lo, 0, v6, vcc_lo
	v_cmp_ne_u32_e32 vcc_lo, 0, v2
	v_lshl_or_b32 v0, v0, 9, 0x7c00
	s_wait_alu 0xfffd
	v_cndmask_b32_e64 v2, 0, 1, vcc_lo
	v_cmp_gt_i32_e32 vcc_lo, 31, v5
	s_delay_alu instid0(VALU_DEP_2)
	v_lshl_or_b32 v2, v2, 9, 0x7c00
	s_wait_alu 0xfffd
	v_cndmask_b32_e32 v4, 0x7c00, v4, vcc_lo
	v_cmp_gt_i32_e32 vcc_lo, 31, v7
	s_wait_alu 0xfffd
	v_cndmask_b32_e32 v6, 0x7c00, v6, vcc_lo
	v_cmp_eq_u32_e32 vcc_lo, 0x40f, v5
	s_wait_alu 0xfffd
	v_cndmask_b32_e32 v0, v4, v0, vcc_lo
	v_cmp_eq_u32_e32 vcc_lo, 0x40f, v7
	s_delay_alu instid0(VALU_DEP_2) | instskip(SKIP_2) | instid1(VALU_DEP_2)
	v_and_or_b32 v0, 0x8000, v1, v0
	s_wait_alu 0xfffd
	v_cndmask_b32_e32 v2, v6, v2, vcc_lo
	v_and_b32_e32 v0, 0xffff, v0
	s_delay_alu instid0(VALU_DEP_2) | instskip(NEXT) | instid1(VALU_DEP_1)
	v_and_or_b32 v1, 0x8000, v3, v2
	v_lshl_or_b32 v2, v1, 16, v0
	v_add_co_u32 v0, vcc_lo, v8, s22
	s_wait_alu 0xfffd
	v_add_co_ci_u32_e32 v1, vcc_lo, s23, v9, vcc_lo
	global_store_b32 v[0:1], v2, off
.LBB0_23:
	s_nop 0
	s_sendmsg sendmsg(MSG_DEALLOC_VGPRS)
	s_endpgm
	.section	.rodata,"a",@progbits
	.p2align	6, 0x0
	.amdhsa_kernel bluestein_single_fwd_len585_dim1_half_op_CI_CI
		.amdhsa_group_segment_fixed_size 7020
		.amdhsa_private_segment_fixed_size 0
		.amdhsa_kernarg_size 104
		.amdhsa_user_sgpr_count 2
		.amdhsa_user_sgpr_dispatch_ptr 0
		.amdhsa_user_sgpr_queue_ptr 0
		.amdhsa_user_sgpr_kernarg_segment_ptr 1
		.amdhsa_user_sgpr_dispatch_id 0
		.amdhsa_user_sgpr_private_segment_size 0
		.amdhsa_wavefront_size32 1
		.amdhsa_uses_dynamic_stack 0
		.amdhsa_enable_private_segment 0
		.amdhsa_system_sgpr_workgroup_id_x 1
		.amdhsa_system_sgpr_workgroup_id_y 0
		.amdhsa_system_sgpr_workgroup_id_z 0
		.amdhsa_system_sgpr_workgroup_info 0
		.amdhsa_system_vgpr_workitem_id 0
		.amdhsa_next_free_vgpr 135
		.amdhsa_next_free_sgpr 26
		.amdhsa_reserve_vcc 1
		.amdhsa_float_round_mode_32 0
		.amdhsa_float_round_mode_16_64 0
		.amdhsa_float_denorm_mode_32 3
		.amdhsa_float_denorm_mode_16_64 3
		.amdhsa_fp16_overflow 0
		.amdhsa_workgroup_processor_mode 1
		.amdhsa_memory_ordered 1
		.amdhsa_forward_progress 0
		.amdhsa_round_robin_scheduling 0
		.amdhsa_exception_fp_ieee_invalid_op 0
		.amdhsa_exception_fp_denorm_src 0
		.amdhsa_exception_fp_ieee_div_zero 0
		.amdhsa_exception_fp_ieee_overflow 0
		.amdhsa_exception_fp_ieee_underflow 0
		.amdhsa_exception_fp_ieee_inexact 0
		.amdhsa_exception_int_div_zero 0
	.end_amdhsa_kernel
	.text
.Lfunc_end0:
	.size	bluestein_single_fwd_len585_dim1_half_op_CI_CI, .Lfunc_end0-bluestein_single_fwd_len585_dim1_half_op_CI_CI
                                        ; -- End function
	.section	.AMDGPU.csdata,"",@progbits
; Kernel info:
; codeLenInByte = 22252
; NumSgprs: 28
; NumVgprs: 135
; ScratchSize: 0
; MemoryBound: 0
; FloatMode: 240
; IeeeMode: 1
; LDSByteSize: 7020 bytes/workgroup (compile time only)
; SGPRBlocks: 3
; VGPRBlocks: 16
; NumSGPRsForWavesPerEU: 28
; NumVGPRsForWavesPerEU: 135
; Occupancy: 10
; WaveLimiterHint : 1
; COMPUTE_PGM_RSRC2:SCRATCH_EN: 0
; COMPUTE_PGM_RSRC2:USER_SGPR: 2
; COMPUTE_PGM_RSRC2:TRAP_HANDLER: 0
; COMPUTE_PGM_RSRC2:TGID_X_EN: 1
; COMPUTE_PGM_RSRC2:TGID_Y_EN: 0
; COMPUTE_PGM_RSRC2:TGID_Z_EN: 0
; COMPUTE_PGM_RSRC2:TIDIG_COMP_CNT: 0
	.text
	.p2alignl 7, 3214868480
	.fill 96, 4, 3214868480
	.type	__hip_cuid_59d2dfab7772ede9,@object ; @__hip_cuid_59d2dfab7772ede9
	.section	.bss,"aw",@nobits
	.globl	__hip_cuid_59d2dfab7772ede9
__hip_cuid_59d2dfab7772ede9:
	.byte	0                               ; 0x0
	.size	__hip_cuid_59d2dfab7772ede9, 1

	.ident	"AMD clang version 19.0.0git (https://github.com/RadeonOpenCompute/llvm-project roc-6.4.0 25133 c7fe45cf4b819c5991fe208aaa96edf142730f1d)"
	.section	".note.GNU-stack","",@progbits
	.addrsig
	.addrsig_sym __hip_cuid_59d2dfab7772ede9
	.amdgpu_metadata
---
amdhsa.kernels:
  - .args:
      - .actual_access:  read_only
        .address_space:  global
        .offset:         0
        .size:           8
        .value_kind:     global_buffer
      - .actual_access:  read_only
        .address_space:  global
        .offset:         8
        .size:           8
        .value_kind:     global_buffer
      - .actual_access:  read_only
        .address_space:  global
        .offset:         16
        .size:           8
        .value_kind:     global_buffer
      - .actual_access:  read_only
        .address_space:  global
        .offset:         24
        .size:           8
        .value_kind:     global_buffer
      - .actual_access:  read_only
        .address_space:  global
        .offset:         32
        .size:           8
        .value_kind:     global_buffer
      - .offset:         40
        .size:           8
        .value_kind:     by_value
      - .address_space:  global
        .offset:         48
        .size:           8
        .value_kind:     global_buffer
      - .address_space:  global
        .offset:         56
        .size:           8
        .value_kind:     global_buffer
      - .address_space:  global
        .offset:         64
        .size:           8
        .value_kind:     global_buffer
      - .address_space:  global
        .offset:         72
        .size:           8
        .value_kind:     global_buffer
      - .offset:         80
        .size:           4
        .value_kind:     by_value
      - .address_space:  global
        .offset:         88
        .size:           8
        .value_kind:     global_buffer
      - .address_space:  global
        .offset:         96
        .size:           8
        .value_kind:     global_buffer
    .group_segment_fixed_size: 7020
    .kernarg_segment_align: 8
    .kernarg_segment_size: 104
    .language:       OpenCL C
    .language_version:
      - 2
      - 0
    .max_flat_workgroup_size: 195
    .name:           bluestein_single_fwd_len585_dim1_half_op_CI_CI
    .private_segment_fixed_size: 0
    .sgpr_count:     28
    .sgpr_spill_count: 0
    .symbol:         bluestein_single_fwd_len585_dim1_half_op_CI_CI.kd
    .uniform_work_group_size: 1
    .uses_dynamic_stack: false
    .vgpr_count:     135
    .vgpr_spill_count: 0
    .wavefront_size: 32
    .workgroup_processor_mode: 1
amdhsa.target:   amdgcn-amd-amdhsa--gfx1201
amdhsa.version:
  - 1
  - 2
...

	.end_amdgpu_metadata
